;; amdgpu-corpus repo=ROCm/rocFFT kind=compiled arch=gfx906 opt=O3
	.text
	.amdgcn_target "amdgcn-amd-amdhsa--gfx906"
	.amdhsa_code_object_version 6
	.protected	bluestein_single_back_len918_dim1_dp_op_CI_CI ; -- Begin function bluestein_single_back_len918_dim1_dp_op_CI_CI
	.globl	bluestein_single_back_len918_dim1_dp_op_CI_CI
	.p2align	8
	.type	bluestein_single_back_len918_dim1_dp_op_CI_CI,@function
bluestein_single_back_len918_dim1_dp_op_CI_CI: ; @bluestein_single_back_len918_dim1_dp_op_CI_CI
; %bb.0:
	s_mov_b64 s[66:67], s[2:3]
	s_mov_b64 s[64:65], s[0:1]
	v_mul_u32_u24_e32 v1, 0x283, v0
	s_add_u32 s64, s64, s7
	v_add_u32_sdwa v3, s6, v1 dst_sel:DWORD dst_unused:UNUSED_PAD src0_sel:DWORD src1_sel:WORD_1
	s_addc_u32 s65, s65, 0
	v_mov_b32_e32 v2, v3
	buffer_store_dword v2, off, s[64:67], 0 offset:36 ; 4-byte Folded Spill
	s_nop 0
	buffer_store_dword v3, off, s[64:67], 0 offset:40 ; 4-byte Folded Spill
	s_load_dwordx4 s[0:3], s[4:5], 0x28
	v_mov_b32_e32 v4, 0
	s_waitcnt lgkmcnt(0)
	v_cmp_gt_u64_e32 vcc, s[0:1], v[3:4]
	s_and_saveexec_b64 s[0:1], vcc
	s_cbranch_execz .LBB0_23
; %bb.1:
	s_load_dwordx2 s[12:13], s[4:5], 0x0
	s_load_dwordx2 s[14:15], s[4:5], 0x38
	s_movk_i32 s0, 0x66
	v_mul_lo_u16_sdwa v1, v1, s0 dst_sel:DWORD dst_unused:UNUSED_PAD src0_sel:WORD_1 src1_sel:DWORD
	v_sub_u16_e32 v148, v0, v1
	v_cmp_gt_u16_e64 s[0:1], 54, v148
	v_lshlrev_b32_e32 v180, 4, v148
	s_and_saveexec_b64 s[6:7], s[0:1]
	s_cbranch_execz .LBB0_3
; %bb.2:
	s_load_dwordx2 s[8:9], s[4:5], 0x18
	s_waitcnt lgkmcnt(0)
	s_load_dwordx4 s[8:11], s[8:9], 0x0
	buffer_load_dword v0, off, s[64:67], 0 offset:36 ; 4-byte Folded Reload
	buffer_load_dword v1, off, s[64:67], 0 offset:40 ; 4-byte Folded Reload
	s_waitcnt lgkmcnt(0)
	v_mad_u64_u32 v[2:3], s[16:17], s8, v148, 0
	s_waitcnt vmcnt(1)
	v_mov_b32_e32 v4, v0
	s_waitcnt vmcnt(0)
	v_mad_u64_u32 v[0:1], s[16:17], s10, v4, 0
	v_mad_u64_u32 v[4:5], s[10:11], s11, v4, v[1:2]
	;; [unrolled: 1-line block ×3, first 2 shown]
	v_mov_b32_e32 v1, v4
	v_lshlrev_b64 v[0:1], 4, v[0:1]
	v_mov_b32_e32 v3, v5
	v_mov_b32_e32 v6, s3
	v_lshlrev_b64 v[2:3], 4, v[2:3]
	v_add_co_u32_e32 v0, vcc, s2, v0
	v_addc_co_u32_e32 v1, vcc, v6, v1, vcc
	v_add_co_u32_e32 v18, vcc, v0, v2
	v_addc_co_u32_e32 v19, vcc, v1, v3, vcc
	v_mov_b32_e32 v0, s13
	v_add_co_u32_e32 v16, vcc, s12, v180
	s_mul_i32 s2, s9, 0x360
	s_mul_hi_u32 s3, s8, 0x360
	v_addc_co_u32_e32 v17, vcc, 0, v0, vcc
	s_add_i32 s2, s3, s2
	s_mul_i32 s3, s8, 0x360
	v_mov_b32_e32 v0, s2
	v_add_co_u32_e32 v20, vcc, s3, v18
	v_addc_co_u32_e32 v21, vcc, v19, v0, vcc
	global_load_dwordx4 v[0:3], v[18:19], off
	global_load_dwordx4 v[4:7], v[20:21], off
	global_load_dwordx4 v[8:11], v180, s[12:13]
	global_load_dwordx4 v[12:15], v180, s[12:13] offset:864
	v_mov_b32_e32 v18, s2
	v_add_co_u32_e32 v34, vcc, s3, v20
	v_addc_co_u32_e32 v35, vcc, v21, v18, vcc
	v_add_co_u32_e32 v36, vcc, s3, v34
	v_addc_co_u32_e32 v37, vcc, v35, v18, vcc
	global_load_dwordx4 v[18:21], v[34:35], off
	global_load_dwordx4 v[22:25], v[36:37], off
	global_load_dwordx4 v[26:29], v180, s[12:13] offset:1728
	global_load_dwordx4 v[30:33], v180, s[12:13] offset:2592
	v_mov_b32_e32 v34, s2
	v_add_co_u32_e32 v42, vcc, s3, v36
	v_addc_co_u32_e32 v43, vcc, v37, v34, vcc
	v_mov_b32_e32 v44, s2
	v_add_co_u32_e32 v54, vcc, s3, v42
	v_addc_co_u32_e32 v55, vcc, v43, v44, vcc
	s_movk_i32 s8, 0x1000
	v_add_co_u32_e32 v82, vcc, s8, v16
	v_addc_co_u32_e32 v83, vcc, 0, v17, vcc
	v_mov_b32_e32 v56, s2
	v_add_co_u32_e32 v58, vcc, s3, v54
	v_addc_co_u32_e32 v59, vcc, v55, v56, vcc
	global_load_dwordx4 v[34:37], v[42:43], off
	global_load_dwordx4 v[38:41], v180, s[12:13] offset:3456
	v_mov_b32_e32 v60, s2
	v_add_co_u32_e32 v62, vcc, s3, v58
	v_addc_co_u32_e32 v63, vcc, v59, v60, vcc
	v_mov_b32_e32 v64, s2
	v_add_co_u32_e32 v74, vcc, s3, v62
	v_addc_co_u32_e32 v75, vcc, v63, v64, vcc
	v_mov_b32_e32 v76, s2
	v_add_co_u32_e32 v84, vcc, s3, v74
	global_load_dwordx4 v[42:45], v[54:55], off
	v_addc_co_u32_e32 v85, vcc, v75, v76, vcc
	global_load_dwordx4 v[46:49], v[82:83], off offset:224
	global_load_dwordx4 v[50:53], v[82:83], off offset:1088
	global_load_dwordx4 v[54:57], v[58:59], off
	v_add_co_u32_e32 v86, vcc, s3, v84
	global_load_dwordx4 v[58:61], v[62:63], off
	s_nop 0
	global_load_dwordx4 v[62:65], v[74:75], off
	global_load_dwordx4 v[66:69], v[82:83], off offset:1952
	global_load_dwordx4 v[70:73], v[82:83], off offset:2816
	s_nop 0
	global_load_dwordx4 v[74:77], v[84:85], off
	global_load_dwordx4 v[78:81], v[82:83], off offset:3680
	v_mov_b32_e32 v82, s2
	v_addc_co_u32_e32 v87, vcc, v85, v82, vcc
	s_movk_i32 s8, 0x2000
	v_add_co_u32_e32 v118, vcc, s8, v16
	v_addc_co_u32_e32 v119, vcc, 0, v17, vcc
	v_mov_b32_e32 v88, s2
	v_add_co_u32_e32 v98, vcc, s3, v86
	v_addc_co_u32_e32 v99, vcc, v87, v88, vcc
	v_mov_b32_e32 v100, s2
	;; [unrolled: 3-line block ×4, first 2 shown]
	v_add_co_u32_e32 v122, vcc, s3, v114
	v_addc_co_u32_e32 v123, vcc, v115, v116, vcc
	global_load_dwordx4 v[82:85], v[86:87], off
	v_mov_b32_e32 v124, s2
	v_add_co_u32_e32 v126, vcc, s3, v122
	global_load_dwordx4 v[86:89], v[98:99], off
	global_load_dwordx4 v[90:93], v[118:119], off offset:448
	global_load_dwordx4 v[94:97], v[118:119], off offset:1312
	v_addc_co_u32_e32 v127, vcc, v123, v124, vcc
	s_movk_i32 s8, 0x3000
	global_load_dwordx4 v[98:101], v[102:103], off
	v_add_co_u32_e32 v16, vcc, s8, v16
	global_load_dwordx4 v[102:105], v[114:115], off
	global_load_dwordx4 v[106:109], v[118:119], off offset:2176
	global_load_dwordx4 v[110:113], v[118:119], off offset:3040
	v_addc_co_u32_e32 v17, vcc, 0, v17, vcc
	global_load_dwordx4 v[114:117], v[122:123], off
	s_nop 0
	global_load_dwordx4 v[118:121], v[118:119], off offset:3904
	v_mov_b32_e32 v128, s2
	v_add_co_u32_e32 v130, vcc, s3, v126
	global_load_dwordx4 v[122:125], v[126:127], off
	v_addc_co_u32_e32 v131, vcc, v127, v128, vcc
	global_load_dwordx4 v[126:129], v[16:17], off offset:672
	s_nop 0
	global_load_dwordx4 v[130:133], v[130:131], off
	s_nop 0
	global_load_dwordx4 v[134:137], v[16:17], off offset:1536
	s_waitcnt vmcnt(31)
	v_mul_f64 v[16:17], v[2:3], v[10:11]
	v_mul_f64 v[10:11], v[0:1], v[10:11]
	s_waitcnt vmcnt(30)
	v_mul_f64 v[138:139], v[6:7], v[14:15]
	v_mul_f64 v[14:15], v[4:5], v[14:15]
	;; [unrolled: 3-line block ×5, first 2 shown]
	v_fma_f64 v[0:1], v[0:1], v[8:9], v[16:17]
	v_fma_f64 v[2:3], v[2:3], v[8:9], -v[10:11]
	v_fma_f64 v[6:7], v[6:7], v[12:13], -v[14:15]
	v_fma_f64 v[8:9], v[18:19], v[26:27], v[140:141]
	v_fma_f64 v[10:11], v[20:21], v[26:27], -v[28:29]
	v_fma_f64 v[14:15], v[24:25], v[30:31], -v[32:33]
	v_fma_f64 v[4:5], v[4:5], v[12:13], v[138:139]
	v_fma_f64 v[12:13], v[22:23], v[30:31], v[142:143]
	;; [unrolled: 1-line block ×3, first 2 shown]
	v_fma_f64 v[18:19], v[36:37], v[38:39], -v[40:41]
	ds_write_b128 v180, v[0:3]
	s_waitcnt vmcnt(22)
	v_mul_f64 v[146:147], v[44:45], v[48:49]
	v_mul_f64 v[48:49], v[42:43], v[48:49]
	s_waitcnt vmcnt(20)
	v_mul_f64 v[24:25], v[56:57], v[52:53]
	v_mul_f64 v[26:27], v[54:55], v[52:53]
	;; [unrolled: 3-line block ×4, first 2 shown]
	v_fma_f64 v[20:21], v[42:43], v[46:47], v[146:147]
	v_fma_f64 v[22:23], v[44:45], v[46:47], -v[48:49]
	v_fma_f64 v[24:25], v[54:55], v[50:51], v[24:25]
	v_fma_f64 v[26:27], v[56:57], v[50:51], -v[26:27]
	;; [unrolled: 2-line block ×4, first 2 shown]
	ds_write_b128 v180, v[4:7] offset:864
	ds_write_b128 v180, v[8:11] offset:1728
	ds_write_b128 v180, v[12:15] offset:2592
	ds_write_b128 v180, v[16:19] offset:3456
	ds_write_b128 v180, v[20:23] offset:4320
	ds_write_b128 v180, v[24:27] offset:5184
	ds_write_b128 v180, v[0:3] offset:6048
	ds_write_b128 v180, v[28:31] offset:6912
	s_waitcnt vmcnt(14)
	v_mul_f64 v[0:1], v[76:77], v[80:81]
	v_mul_f64 v[2:3], v[74:75], v[80:81]
	v_fma_f64 v[0:1], v[74:75], v[78:79], v[0:1]
	v_fma_f64 v[2:3], v[76:77], v[78:79], -v[2:3]
	s_waitcnt vmcnt(11)
	v_mul_f64 v[4:5], v[84:85], v[92:93]
	v_mul_f64 v[6:7], v[82:83], v[92:93]
	s_waitcnt vmcnt(10)
	v_mul_f64 v[8:9], v[88:89], v[96:97]
	v_mul_f64 v[10:11], v[86:87], v[96:97]
	;; [unrolled: 3-line block ×5, first 2 shown]
	v_fma_f64 v[4:5], v[82:83], v[90:91], v[4:5]
	v_fma_f64 v[6:7], v[84:85], v[90:91], -v[6:7]
	v_fma_f64 v[8:9], v[86:87], v[94:95], v[8:9]
	s_waitcnt vmcnt(2)
	v_mul_f64 v[24:25], v[124:125], v[128:129]
	v_mul_f64 v[26:27], v[122:123], v[128:129]
	s_waitcnt vmcnt(0)
	v_mul_f64 v[28:29], v[132:133], v[136:137]
	v_mul_f64 v[30:31], v[130:131], v[136:137]
	v_fma_f64 v[10:11], v[88:89], v[94:95], -v[10:11]
	v_fma_f64 v[12:13], v[98:99], v[106:107], v[12:13]
	v_fma_f64 v[14:15], v[100:101], v[106:107], -v[14:15]
	v_fma_f64 v[16:17], v[102:103], v[110:111], v[16:17]
	;; [unrolled: 2-line block ×5, first 2 shown]
	v_fma_f64 v[30:31], v[132:133], v[134:135], -v[30:31]
	ds_write_b128 v180, v[0:3] offset:7776
	ds_write_b128 v180, v[4:7] offset:8640
	;; [unrolled: 1-line block ×8, first 2 shown]
.LBB0_3:
	s_or_b64 exec, exec, s[6:7]
	buffer_store_dword v148, off, s[64:67], 0 ; 4-byte Folded Spill
	s_load_dwordx2 s[2:3], s[4:5], 0x20
	s_load_dwordx2 s[8:9], s[4:5], 0x8
	s_waitcnt vmcnt(0) lgkmcnt(0)
	s_barrier
	s_waitcnt lgkmcnt(0)
                                        ; implicit-def: $vgpr28_vgpr29
                                        ; implicit-def: $vgpr84_vgpr85
                                        ; implicit-def: $vgpr88_vgpr89
                                        ; implicit-def: $vgpr92_vgpr93
                                        ; implicit-def: $vgpr96_vgpr97
                                        ; implicit-def: $vgpr76_vgpr77
                                        ; implicit-def: $vgpr40_vgpr41
                                        ; implicit-def: $vgpr32_vgpr33
                                        ; implicit-def: $vgpr36_vgpr37
                                        ; implicit-def: $vgpr44_vgpr45
                                        ; implicit-def: $vgpr48_vgpr49
                                        ; implicit-def: $vgpr52_vgpr53
                                        ; implicit-def: $vgpr56_vgpr57
                                        ; implicit-def: $vgpr60_vgpr61
                                        ; implicit-def: $vgpr64_vgpr65
                                        ; implicit-def: $vgpr68_vgpr69
                                        ; implicit-def: $vgpr72_vgpr73
	s_and_saveexec_b64 s[4:5], s[0:1]
	s_cbranch_execz .LBB0_5
; %bb.4:
	ds_read_b128 v[28:31], v180
	ds_read_b128 v[84:87], v180 offset:864
	ds_read_b128 v[88:91], v180 offset:1728
	;; [unrolled: 1-line block ×16, first 2 shown]
.LBB0_5:
	s_or_b64 exec, exec, s[4:5]
	s_waitcnt lgkmcnt(0)
	v_add_f64 v[82:83], v[86:87], -v[74:75]
	v_add_f64 v[80:81], v[84:85], -v[72:73]
	s_mov_b32 s26, 0x5d8e7cdc
	s_mov_b32 s27, 0xbfd71e95
	v_add_f64 v[112:113], v[90:91], -v[70:71]
	v_add_f64 v[106:107], v[88:89], -v[68:69]
	s_mov_b32 s28, 0x2a9d6da3
	s_mov_b32 s29, 0xbfe58eea
	v_mul_f64 v[0:1], v[82:83], s[26:27]
	v_mul_f64 v[2:3], v[80:81], s[26:27]
	v_add_f64 v[142:143], v[94:95], -v[66:67]
	v_add_f64 v[154:155], v[92:93], -v[64:65]
	v_mul_f64 v[4:5], v[112:113], s[28:29]
	v_mul_f64 v[6:7], v[106:107], s[28:29]
	s_mov_b32 s34, 0x7c9e640b
	s_mov_b32 s35, 0xbfeca52d
	buffer_store_dword v0, off, s[64:67], 0 offset:60 ; 4-byte Folded Spill
	s_nop 0
	buffer_store_dword v1, off, s[64:67], 0 offset:64 ; 4-byte Folded Spill
	buffer_store_dword v2, off, s[64:67], 0 offset:76 ; 4-byte Folded Spill
	s_nop 0
	buffer_store_dword v3, off, s[64:67], 0 offset:80 ; 4-byte Folded Spill
	;; [unrolled: 3-line block ×4, first 2 shown]
	v_mul_f64 v[8:9], v[142:143], s[34:35]
	v_mul_f64 v[10:11], v[154:155], s[34:35]
	buffer_store_dword v8, off, s[64:67], 0 offset:124 ; 4-byte Folded Spill
	s_nop 0
	buffer_store_dword v9, off, s[64:67], 0 offset:128 ; 4-byte Folded Spill
	buffer_store_dword v10, off, s[64:67], 0 offset:140 ; 4-byte Folded Spill
	s_nop 0
	buffer_store_dword v11, off, s[64:67], 0 offset:144 ; 4-byte Folded Spill
	v_add_f64 v[108:109], v[84:85], v[72:73]
	v_add_f64 v[110:111], v[86:87], v[74:75]
	s_mov_b32 s4, 0x370991
	s_mov_b32 s5, 0x3fedd6d0
	v_add_f64 v[118:119], v[88:89], v[68:69]
	v_add_f64 v[120:121], v[90:91], v[70:71]
	s_mov_b32 s6, 0x75d4884
	s_mov_b32 s7, 0x3fe7a5f6
	v_add_f64 v[124:125], v[92:93], v[64:65]
	v_add_f64 v[126:127], v[94:95], v[66:67]
	v_add_f64 v[168:169], v[98:99], -v[62:63]
	v_add_f64 v[186:187], v[96:97], -v[60:61]
	s_mov_b32 s10, 0x2b2883cd
	s_mov_b32 s30, 0xeb564b22
	s_mov_b32 s11, 0x3fdc86fa
	s_mov_b32 s31, 0xbfefdd0d
	v_add_f64 v[132:133], v[96:97], v[60:61]
	v_add_f64 v[138:139], v[98:99], v[62:63]
	v_add_f64 v[204:205], v[78:79], -v[58:59]
	v_add_f64 v[216:217], v[76:77], -v[56:57]
	s_mov_b32 s16, 0x3259b75e
	s_mov_b32 s36, 0x923c349f
	;; [unrolled: 8-line block ×4, first 2 shown]
	s_mov_b32 s23, 0xbfe348c8
	s_mov_b32 s41, 0xbfe0d888
	v_add_f64 v[156:157], v[32:33], v[48:49]
	v_add_f64 v[160:161], v[34:35], v[50:51]
	s_mov_b32 s20, 0x910ea3b9
	s_mov_b32 s21, 0xbfeb34fa
	v_mul_f64 v[16:17], v[142:143], s[38:39]
	v_mul_f64 v[18:19], v[154:155], s[38:39]
	v_add_f64 v[130:131], v[38:39], -v[46:47]
	v_add_f64 v[134:135], v[36:37], -v[44:45]
	s_mov_b32 s42, 0xacd6c6b4
	s_mov_b32 s43, 0xbfc7851a
	v_add_f64 v[172:173], v[36:37], v[44:45]
	v_add_f64 v[174:175], v[38:39], v[46:47]
	s_mov_b32 s24, 0x7faef3
	s_mov_b32 s25, 0xbfef7484
	v_mul_f64 v[12:13], v[130:131], s[42:43]
	v_mul_f64 v[14:15], v[134:135], s[42:43]
	s_mov_b32 s51, 0x3fe0d888
	s_mov_b32 s50, s40
	v_mul_f64 v[20:21], v[82:83], s[34:35]
	v_mul_f64 v[22:23], v[80:81], s[34:35]
	s_mov_b32 s53, 0x3feec746
	s_mov_b32 s52, s36
	;; [unrolled: 1-line block ×3, first 2 shown]
	v_fma_f64 v[0:1], v[108:109], s[4:5], v[0:1]
	v_fma_f64 v[2:3], v[110:111], s[4:5], -v[2:3]
	s_mov_b32 s44, s42
	s_mov_b32 s47, 0x3fe58eea
	v_fma_f64 v[4:5], v[118:119], s[6:7], v[4:5]
	v_fma_f64 v[6:7], v[120:121], s[6:7], -v[6:7]
	s_mov_b32 s46, s28
	s_mov_b32 s49, 0x3fd71e95
	v_add_f64 v[0:1], v[28:29], v[0:1]
	v_add_f64 v[2:3], v[30:31], v[2:3]
	s_mov_b32 s48, s26
	s_mov_b32 s55, 0x3fe9895b
	;; [unrolled: 1-line block ×3, first 2 shown]
	v_mul_f64 v[152:153], v[80:81], s[36:37]
	v_mul_f64 v[158:159], v[106:107], s[50:51]
	;; [unrolled: 1-line block ×3, first 2 shown]
	v_add_f64 v[0:1], v[4:5], v[0:1]
	v_add_f64 v[2:3], v[6:7], v[2:3]
	v_fma_f64 v[4:5], v[124:125], s[10:11], v[8:9]
	v_fma_f64 v[6:7], v[126:127], s[10:11], -v[10:11]
	v_mul_f64 v[8:9], v[168:169], s[30:31]
	v_mul_f64 v[10:11], v[186:187], s[30:31]
	;; [unrolled: 1-line block ×4, first 2 shown]
	buffer_store_dword v8, off, s[64:67], 0 offset:156 ; 4-byte Folded Spill
	s_nop 0
	buffer_store_dword v9, off, s[64:67], 0 offset:160 ; 4-byte Folded Spill
	buffer_store_dword v10, off, s[64:67], 0 offset:172 ; 4-byte Folded Spill
	s_nop 0
	buffer_store_dword v11, off, s[64:67], 0 offset:176 ; 4-byte Folded Spill
	v_add_f64 v[0:1], v[4:5], v[0:1]
	v_add_f64 v[2:3], v[6:7], v[2:3]
	v_mul_f64 v[136:137], v[116:117], s[26:27]
	v_mul_f64 v[176:177], v[128:129], s[26:27]
	;; [unrolled: 1-line block ×31, first 2 shown]
	v_fma_f64 v[4:5], v[132:133], s[16:17], v[8:9]
	v_fma_f64 v[6:7], v[138:139], s[16:17], -v[10:11]
	v_mul_f64 v[8:9], v[204:205], s[36:37]
	v_mul_f64 v[10:11], v[216:217], s[36:37]
	buffer_store_dword v8, off, s[64:67], 0 offset:188 ; 4-byte Folded Spill
	s_nop 0
	buffer_store_dword v9, off, s[64:67], 0 offset:192 ; 4-byte Folded Spill
	buffer_store_dword v10, off, s[64:67], 0 offset:204 ; 4-byte Folded Spill
	s_nop 0
	buffer_store_dword v11, off, s[64:67], 0 offset:208 ; 4-byte Folded Spill
	v_add_f64 v[0:1], v[4:5], v[0:1]
	v_add_f64 v[2:3], v[6:7], v[2:3]
	v_fma_f64 v[4:5], v[144:145], s[18:19], v[8:9]
	v_fma_f64 v[6:7], v[146:147], s[18:19], -v[10:11]
	v_mul_f64 v[8:9], v[250:251], s[38:39]
	v_mul_f64 v[10:11], v[252:253], s[38:39]
	buffer_store_dword v8, off, s[64:67], 0 offset:220 ; 4-byte Folded Spill
	s_nop 0
	buffer_store_dword v9, off, s[64:67], 0 offset:224 ; 4-byte Folded Spill
	buffer_store_dword v10, off, s[64:67], 0 offset:236 ; 4-byte Folded Spill
	s_nop 0
	buffer_store_dword v11, off, s[64:67], 0 offset:240 ; 4-byte Folded Spill
	v_add_f64 v[0:1], v[4:5], v[0:1]
	v_add_f64 v[2:3], v[6:7], v[2:3]
	;; [unrolled: 12-line block ×4, first 2 shown]
	v_fma_f64 v[4:5], v[108:109], s[6:7], v[8:9]
	v_mul_f64 v[8:9], v[112:113], s[30:31]
	v_fma_f64 v[6:7], v[110:111], s[6:7], -v[10:11]
	v_mul_f64 v[10:11], v[106:107], s[30:31]
	buffer_store_dword v8, off, s[64:67], 0 offset:284 ; 4-byte Folded Spill
	s_nop 0
	buffer_store_dword v9, off, s[64:67], 0 offset:288 ; 4-byte Folded Spill
	buffer_store_dword v10, off, s[64:67], 0 offset:364 ; 4-byte Folded Spill
	s_nop 0
	buffer_store_dword v11, off, s[64:67], 0 offset:368 ; 4-byte Folded Spill
	;; [unrolled: 3-line block ×4, first 2 shown]
	v_add_f64 v[4:5], v[28:29], v[4:5]
	v_add_f64 v[6:7], v[30:31], v[6:7]
	buffer_store_dword v12, off, s[64:67], 0 offset:260 ; 4-byte Folded Spill
	s_nop 0
	buffer_store_dword v13, off, s[64:67], 0 offset:264 ; 4-byte Folded Spill
	buffer_store_dword v14, off, s[64:67], 0 offset:268 ; 4-byte Folded Spill
	s_nop 0
	buffer_store_dword v15, off, s[64:67], 0 offset:272 ; 4-byte Folded Spill
	v_fma_f64 v[8:9], v[118:119], s[16:17], v[8:9]
	v_fma_f64 v[10:11], v[120:121], s[16:17], -v[10:11]
	v_fma_f64 v[12:13], v[172:173], s[24:25], v[12:13]
	v_add_f64 v[4:5], v[8:9], v[4:5]
	v_fma_f64 v[8:9], v[124:125], s[22:23], v[16:17]
	v_add_f64 v[6:7], v[10:11], v[6:7]
	v_fma_f64 v[10:11], v[126:127], s[22:23], -v[18:19]
	v_mul_f64 v[16:17], v[168:169], s[42:43]
	v_mul_f64 v[18:19], v[186:187], s[42:43]
	buffer_store_dword v16, off, s[64:67], 0 offset:300 ; 4-byte Folded Spill
	s_nop 0
	buffer_store_dword v17, off, s[64:67], 0 offset:304 ; 4-byte Folded Spill
	buffer_store_dword v18, off, s[64:67], 0 offset:348 ; 4-byte Folded Spill
	s_nop 0
	buffer_store_dword v19, off, s[64:67], 0 offset:352 ; 4-byte Folded Spill
	v_fma_f64 v[14:15], v[174:175], s[24:25], -v[14:15]
	v_add_f64 v[4:5], v[8:9], v[4:5]
	v_add_f64 v[6:7], v[10:11], v[6:7]
	;; [unrolled: 1-line block ×3, first 2 shown]
	v_mul_f64 v[12:13], v[112:113], s[38:39]
	v_add_f64 v[2:3], v[14:15], v[2:3]
	buffer_store_dword v0, off, s[64:67], 0 offset:4 ; 4-byte Folded Spill
	s_nop 0
	buffer_store_dword v1, off, s[64:67], 0 offset:8 ; 4-byte Folded Spill
	buffer_store_dword v2, off, s[64:67], 0 offset:12 ; 4-byte Folded Spill
	;; [unrolled: 1-line block ×3, first 2 shown]
	v_mul_f64 v[14:15], v[106:107], s[38:39]
	v_fma_f64 v[8:9], v[132:133], s[24:25], v[16:17]
	v_fma_f64 v[10:11], v[138:139], s[24:25], -v[18:19]
	v_mul_f64 v[16:17], v[204:205], s[50:51]
	v_mul_f64 v[18:19], v[216:217], s[50:51]
	buffer_store_dword v16, off, s[64:67], 0 offset:308 ; 4-byte Folded Spill
	s_nop 0
	buffer_store_dword v17, off, s[64:67], 0 offset:312 ; 4-byte Folded Spill
	buffer_store_dword v18, off, s[64:67], 0 offset:340 ; 4-byte Folded Spill
	s_nop 0
	buffer_store_dword v19, off, s[64:67], 0 offset:344 ; 4-byte Folded Spill
	;; [unrolled: 3-line block ×4, first 2 shown]
	v_add_f64 v[0:1], v[8:9], v[4:5]
	v_add_f64 v[2:3], v[10:11], v[6:7]
	buffer_store_dword v12, off, s[64:67], 0 offset:444 ; 4-byte Folded Spill
	s_nop 0
	buffer_store_dword v13, off, s[64:67], 0 offset:448 ; 4-byte Folded Spill
	buffer_store_dword v14, off, s[64:67], 0 offset:484 ; 4-byte Folded Spill
	s_nop 0
	buffer_store_dword v15, off, s[64:67], 0 offset:488 ; 4-byte Folded Spill
	v_fma_f64 v[4:5], v[144:145], s[20:21], v[16:17]
	v_fma_f64 v[6:7], v[146:147], s[20:21], -v[18:19]
	v_fma_f64 v[8:9], v[108:109], s[10:11], v[20:21]
	v_fma_f64 v[10:11], v[110:111], s[10:11], -v[22:23]
	v_mul_f64 v[16:17], v[250:251], s[52:53]
	v_mul_f64 v[18:19], v[252:253], s[52:53]
	;; [unrolled: 1-line block ×4, first 2 shown]
	buffer_store_dword v16, off, s[64:67], 0 offset:316 ; 4-byte Folded Spill
	s_nop 0
	buffer_store_dword v17, off, s[64:67], 0 offset:320 ; 4-byte Folded Spill
	buffer_store_dword v18, off, s[64:67], 0 offset:388 ; 4-byte Folded Spill
	s_nop 0
	buffer_store_dword v19, off, s[64:67], 0 offset:392 ; 4-byte Folded Spill
	;; [unrolled: 3-line block ×4, first 2 shown]
	v_add_f64 v[8:9], v[28:29], v[8:9]
	v_fma_f64 v[12:13], v[118:119], s[22:23], v[12:13]
	v_add_f64 v[10:11], v[30:31], v[10:11]
	v_fma_f64 v[14:15], v[120:121], s[22:23], -v[14:15]
	s_mov_b32 s45, 0x3feca52d
	s_mov_b32 s44, s34
	v_add_f64 v[0:1], v[4:5], v[0:1]
	v_add_f64 v[2:3], v[6:7], v[2:3]
	v_mul_f64 v[196:197], v[130:131], s[44:45]
	v_add_f64 v[8:9], v[12:13], v[8:9]
	v_mul_f64 v[214:215], v[134:135], s[44:45]
	;; [unrolled: 2-line block ×3, first 2 shown]
	v_mul_f64 v[236:237], v[106:107], s[44:45]
	v_fma_f64 v[4:5], v[148:149], s[18:19], v[16:17]
	v_fma_f64 v[6:7], v[150:151], s[18:19], -v[18:19]
	v_fma_f64 v[12:13], v[124:125], s[24:25], v[20:21]
	v_fma_f64 v[14:15], v[126:127], s[24:25], -v[22:23]
	v_mul_f64 v[20:21], v[168:169], s[52:53]
	v_mul_f64 v[22:23], v[186:187], s[52:53]
	buffer_store_dword v20, off, s[64:67], 0 offset:460 ; 4-byte Folded Spill
	s_nop 0
	buffer_store_dword v21, off, s[64:67], 0 offset:464 ; 4-byte Folded Spill
	buffer_store_dword v22, off, s[64:67], 0 offset:500 ; 4-byte Folded Spill
	s_nop 0
	buffer_store_dword v23, off, s[64:67], 0 offset:504 ; 4-byte Folded Spill
	v_mul_f64 v[16:17], v[116:117], s[44:45]
	v_mul_f64 v[18:19], v[128:129], s[44:45]
	v_add_f64 v[8:9], v[12:13], v[8:9]
	v_add_f64 v[10:11], v[14:15], v[10:11]
	buffer_store_dword v16, off, s[64:67], 0 offset:324 ; 4-byte Folded Spill
	s_nop 0
	buffer_store_dword v17, off, s[64:67], 0 offset:328 ; 4-byte Folded Spill
	buffer_store_dword v18, off, s[64:67], 0 offset:380 ; 4-byte Folded Spill
	s_nop 0
	buffer_store_dword v19, off, s[64:67], 0 offset:384 ; 4-byte Folded Spill
	v_add_f64 v[0:1], v[4:5], v[0:1]
	v_add_f64 v[2:3], v[6:7], v[2:3]
	v_fma_f64 v[12:13], v[132:133], s[18:19], v[20:21]
	v_fma_f64 v[14:15], v[138:139], s[18:19], -v[22:23]
	v_mul_f64 v[20:21], v[204:205], s[46:47]
	v_mul_f64 v[22:23], v[216:217], s[46:47]
	buffer_store_dword v20, off, s[64:67], 0 offset:468 ; 4-byte Folded Spill
	s_nop 0
	buffer_store_dword v21, off, s[64:67], 0 offset:472 ; 4-byte Folded Spill
	buffer_store_dword v22, off, s[64:67], 0 offset:508 ; 4-byte Folded Spill
	s_nop 0
	buffer_store_dword v23, off, s[64:67], 0 offset:512 ; 4-byte Folded Spill
	v_fma_f64 v[4:5], v[156:157], s[10:11], v[16:17]
	v_fma_f64 v[6:7], v[160:161], s[10:11], -v[18:19]
	v_add_f64 v[8:9], v[12:13], v[8:9]
	v_add_f64 v[10:11], v[14:15], v[10:11]
	v_mul_f64 v[16:17], v[130:131], s[48:49]
	v_mul_f64 v[18:19], v[134:135], s[48:49]
	v_add_f64 v[0:1], v[4:5], v[0:1]
	v_add_f64 v[2:3], v[6:7], v[2:3]
	v_fma_f64 v[12:13], v[144:145], s[6:7], v[20:21]
	v_fma_f64 v[14:15], v[146:147], s[6:7], -v[22:23]
	v_mul_f64 v[20:21], v[250:251], s[26:27]
	v_mul_f64 v[22:23], v[252:253], s[26:27]
	buffer_store_dword v20, off, s[64:67], 0 offset:404 ; 4-byte Folded Spill
	s_nop 0
	buffer_store_dword v21, off, s[64:67], 0 offset:408 ; 4-byte Folded Spill
	buffer_store_dword v22, off, s[64:67], 0 offset:516 ; 4-byte Folded Spill
	s_nop 0
	buffer_store_dword v23, off, s[64:67], 0 offset:520 ; 4-byte Folded Spill
	;; [unrolled: 3-line block ×4, first 2 shown]
	v_add_f64 v[8:9], v[12:13], v[8:9]
	v_add_f64 v[10:11], v[14:15], v[10:11]
	v_fma_f64 v[12:13], v[148:149], s[4:5], v[20:21]
	v_fma_f64 v[14:15], v[150:151], s[4:5], -v[22:23]
	v_mul_f64 v[20:21], v[116:117], s[30:31]
	v_mul_f64 v[22:23], v[128:129], s[30:31]
	v_fma_f64 v[4:5], v[172:173], s[4:5], v[16:17]
	v_fma_f64 v[6:7], v[174:175], s[4:5], -v[18:19]
	buffer_store_dword v20, off, s[64:67], 0 offset:412 ; 4-byte Folded Spill
	s_nop 0
	buffer_store_dword v21, off, s[64:67], 0 offset:416 ; 4-byte Folded Spill
	buffer_store_dword v22, off, s[64:67], 0 offset:524 ; 4-byte Folded Spill
	s_nop 0
	buffer_store_dword v23, off, s[64:67], 0 offset:528 ; 4-byte Folded Spill
	v_mul_f64 v[16:17], v[130:131], s[40:41]
	v_add_f64 v[0:1], v[4:5], v[0:1]
	v_add_f64 v[2:3], v[6:7], v[2:3]
	buffer_store_dword v0, off, s[64:67], 0 offset:20 ; 4-byte Folded Spill
	s_nop 0
	buffer_store_dword v1, off, s[64:67], 0 offset:24 ; 4-byte Folded Spill
	buffer_store_dword v2, off, s[64:67], 0 offset:28 ; 4-byte Folded Spill
	;; [unrolled: 1-line block ×4, first 2 shown]
	s_nop 0
	buffer_store_dword v17, off, s[64:67], 0 offset:424 ; 4-byte Folded Spill
	v_add_f64 v[8:9], v[12:13], v[8:9]
	v_add_f64 v[10:11], v[14:15], v[10:11]
	v_mul_f64 v[18:19], v[134:135], s[40:41]
	buffer_store_dword v18, off, s[64:67], 0 offset:428 ; 4-byte Folded Spill
	s_nop 0
	buffer_store_dword v19, off, s[64:67], 0 offset:432 ; 4-byte Folded Spill
	v_fma_f64 v[12:13], v[156:157], s[16:17], v[20:21]
	v_fma_f64 v[14:15], v[160:161], s[16:17], -v[22:23]
	v_mul_f64 v[20:21], v[82:83], s[30:31]
	v_fma_f64 v[22:23], v[118:119], s[18:19], v[182:183]
	v_add_f64 v[0:1], v[12:13], v[8:9]
	v_add_f64 v[2:3], v[14:15], v[10:11]
	v_mul_f64 v[14:15], v[112:113], s[42:43]
	buffer_store_dword v14, off, s[64:67], 0 offset:540 ; 4-byte Folded Spill
	s_nop 0
	buffer_store_dword v15, off, s[64:67], 0 offset:544 ; 4-byte Folded Spill
	v_fma_f64 v[8:9], v[172:173], s[20:21], v[16:17]
	v_mov_b32_e32 v5, v20
	v_mov_b32_e32 v6, v21
	v_fma_f64 v[12:13], v[108:109], s[16:17], v[5:6]
	v_fma_f64 v[16:17], v[120:121], s[20:21], -v[158:159]
	v_fma_f64 v[10:11], v[174:175], s[20:21], -v[18:19]
	v_add_f64 v[24:25], v[8:9], v[0:1]
	v_mul_f64 v[7:8], v[80:81], s[30:31]
	buffer_store_dword v7, off, s[64:67], 0 offset:580 ; 4-byte Folded Spill
	s_nop 0
	buffer_store_dword v8, off, s[64:67], 0 offset:584 ; 4-byte Folded Spill
	v_add_f64 v[26:27], v[10:11], v[2:3]
	v_add_f64 v[0:1], v[28:29], v[12:13]
	v_fma_f64 v[2:3], v[118:119], s[24:25], v[14:15]
	v_add_f64 v[0:1], v[2:3], v[0:1]
	v_fma_f64 v[2:3], v[110:111], s[16:17], -v[7:8]
	v_mul_f64 v[7:8], v[106:107], s[42:43]
	buffer_store_dword v7, off, s[64:67], 0 offset:588 ; 4-byte Folded Spill
	s_nop 0
	buffer_store_dword v8, off, s[64:67], 0 offset:592 ; 4-byte Folded Spill
	v_add_f64 v[2:3], v[30:31], v[2:3]
	v_fma_f64 v[12:13], v[120:121], s[24:25], -v[7:8]
	v_mul_f64 v[7:8], v[142:143], s[52:53]
	buffer_store_dword v7, off, s[64:67], 0 offset:564 ; 4-byte Folded Spill
	s_nop 0
	buffer_store_dword v8, off, s[64:67], 0 offset:568 ; 4-byte Folded Spill
	v_add_f64 v[2:3], v[12:13], v[2:3]
	v_fma_f64 v[12:13], v[124:125], s[18:19], v[7:8]
	v_mul_f64 v[7:8], v[154:155], s[52:53]
	buffer_store_dword v7, off, s[64:67], 0 offset:612 ; 4-byte Folded Spill
	s_nop 0
	buffer_store_dword v8, off, s[64:67], 0 offset:616 ; 4-byte Folded Spill
	v_add_f64 v[0:1], v[12:13], v[0:1]
	v_fma_f64 v[12:13], v[126:127], s[18:19], -v[7:8]
	v_mul_f64 v[7:8], v[168:169], s[48:49]
	buffer_store_dword v7, off, s[64:67], 0 offset:556 ; 4-byte Folded Spill
	s_nop 0
	buffer_store_dword v8, off, s[64:67], 0 offset:560 ; 4-byte Folded Spill
	v_add_f64 v[2:3], v[12:13], v[2:3]
	v_fma_f64 v[12:13], v[132:133], s[4:5], v[7:8]
	;; [unrolled: 12-line block ×6, first 2 shown]
	v_mul_f64 v[7:8], v[142:143], s[46:47]
	v_mul_f64 v[142:143], v[142:143], s[40:41]
	v_add_f64 v[100:101], v[12:13], v[0:1]
	v_mul_f64 v[0:1], v[134:135], s[46:47]
	buffer_store_dword v0, off, s[64:67], 0 offset:644 ; 4-byte Folded Spill
	s_nop 0
	buffer_store_dword v1, off, s[64:67], 0 offset:648 ; 4-byte Folded Spill
	v_fma_f64 v[0:1], v[174:175], s[6:7], -v[0:1]
	v_add_f64 v[102:103], v[0:1], v[2:3]
	v_mul_f64 v[0:1], v[82:83], s[36:37]
	buffer_store_dword v0, off, s[64:67], 0 offset:652 ; 4-byte Folded Spill
	s_nop 0
	buffer_store_dword v1, off, s[64:67], 0 offset:656 ; 4-byte Folded Spill
	v_mul_f64 v[2:3], v[112:113], s[50:51]
	buffer_store_dword v2, off, s[64:67], 0 offset:660 ; 4-byte Folded Spill
	s_nop 0
	buffer_store_dword v3, off, s[64:67], 0 offset:664 ; 4-byte Folded Spill
	buffer_store_dword v7, off, s[64:67], 0 offset:676 ; 4-byte Folded Spill
	s_nop 0
	buffer_store_dword v8, off, s[64:67], 0 offset:680 ; 4-byte Folded Spill
	v_mul_f64 v[112:113], v[112:113], s[48:49]
	v_fma_f64 v[82:83], v[108:109], s[24:25], v[254:255]
	v_add_f64 v[82:83], v[28:29], v[82:83]
	v_fma_f64 v[0:1], v[108:109], s[18:19], v[0:1]
	v_add_f64 v[0:1], v[28:29], v[0:1]
	;; [unrolled: 2-line block ×3, first 2 shown]
	v_fma_f64 v[2:3], v[110:111], s[18:19], -v[152:153]
	v_add_f64 v[2:3], v[30:31], v[2:3]
	v_add_f64 v[2:3], v[16:17], v[2:3]
	v_fma_f64 v[16:17], v[124:125], s[6:7], v[7:8]
	v_mul_f64 v[7:8], v[168:169], s[34:35]
	buffer_store_dword v7, off, s[64:67], 0 offset:668 ; 4-byte Folded Spill
	s_nop 0
	buffer_store_dword v8, off, s[64:67], 0 offset:672 ; 4-byte Folded Spill
	v_add_f64 v[0:1], v[16:17], v[0:1]
	v_fma_f64 v[16:17], v[126:127], s[6:7], -v[164:165]
	s_mov_b32 s35, 0x3fefdd0d
	s_mov_b32 s34, s30
	v_mul_f64 v[170:171], v[252:253], s[34:35]
	v_mul_f64 v[190:191], v[204:205], s[34:35]
	;; [unrolled: 1-line block ×4, first 2 shown]
	v_add_f64 v[2:3], v[16:17], v[2:3]
	v_fma_f64 v[16:17], v[132:133], s[10:11], v[7:8]
	v_add_f64 v[0:1], v[16:17], v[0:1]
	v_fma_f64 v[16:17], v[138:139], s[10:11], -v[162:163]
	v_add_f64 v[16:17], v[16:17], v[2:3]
	v_mul_f64 v[2:3], v[204:205], s[42:43]
	v_fma_f64 v[18:19], v[144:145], s[24:25], v[2:3]
	v_add_f64 v[18:19], v[18:19], v[0:1]
	v_fma_f64 v[0:1], v[146:147], s[24:25], -v[166:167]
	v_add_f64 v[16:17], v[0:1], v[16:17]
	v_mul_f64 v[0:1], v[250:251], s[34:35]
	v_fma_f64 v[20:21], v[148:149], s[16:17], v[0:1]
	v_add_f64 v[18:19], v[20:21], v[18:19]
	v_fma_f64 v[20:21], v[150:151], s[16:17], -v[170:171]
	v_add_f64 v[16:17], v[20:21], v[16:17]
	v_fma_f64 v[20:21], v[156:157], s[4:5], v[136:137]
	v_add_f64 v[18:19], v[20:21], v[18:19]
	v_fma_f64 v[20:21], v[160:161], s[4:5], -v[176:177]
	v_add_f64 v[20:21], v[20:21], v[16:17]
	;; [unrolled: 4-line block ×3, first 2 shown]
	v_fma_f64 v[20:21], v[108:109], s[22:23], v[122:123]
	v_mov_b32_e32 v15, v24
	v_mov_b32_e32 v16, v25
	v_mov_b32_e32 v17, v26
	v_mov_b32_e32 v18, v27
	v_fma_f64 v[24:25], v[120:121], s[18:19], -v[200:201]
	v_fma_f64 v[26:27], v[118:119], s[10:11], v[220:221]
	v_add_f64 v[20:21], v[28:29], v[20:21]
	v_add_f64 v[20:21], v[22:23], v[20:21]
	v_fma_f64 v[22:23], v[110:111], s[22:23], -v[198:199]
	v_add_f64 v[22:23], v[30:31], v[22:23]
	v_add_f64 v[22:23], v[24:25], v[22:23]
	v_fma_f64 v[24:25], v[124:125], s[4:5], v[188:189]
	v_add_f64 v[20:21], v[24:25], v[20:21]
	v_fma_f64 v[24:25], v[126:127], s[4:5], -v[206:207]
	v_add_f64 v[22:23], v[24:25], v[22:23]
	v_fma_f64 v[24:25], v[132:133], s[20:21], v[184:185]
	v_add_f64 v[20:21], v[24:25], v[20:21]
	v_fma_f64 v[24:25], v[138:139], s[20:21], -v[202:203]
	;; [unrolled: 4-line block ×6, first 2 shown]
	v_add_f64 v[9:10], v[24:25], v[22:23]
	v_fma_f64 v[24:25], v[108:109], s[20:21], v[218:219]
	v_mov_b32_e32 v19, v100
	v_mov_b32_e32 v20, v101
	v_mov_b32_e32 v21, v102
	v_mov_b32_e32 v22, v103
	v_fma_f64 v[100:101], v[120:121], s[10:11], -v[236:237]
	v_mul_f64 v[102:103], v[80:81], s[42:43]
	v_add_f64 v[24:25], v[28:29], v[24:25]
	v_fma_f64 v[80:81], v[110:111], s[24:25], -v[102:103]
	v_add_f64 v[24:25], v[26:27], v[24:25]
	v_fma_f64 v[26:27], v[110:111], s[20:21], -v[234:235]
	v_add_f64 v[80:81], v[30:31], v[80:81]
	v_add_f64 v[26:27], v[30:31], v[26:27]
	;; [unrolled: 1-line block ×3, first 2 shown]
	v_fma_f64 v[100:101], v[124:125], s[16:17], v[224:225]
	v_add_f64 v[24:25], v[100:101], v[24:25]
	v_fma_f64 v[100:101], v[126:127], s[16:17], -v[240:241]
	v_add_f64 v[26:27], v[100:101], v[26:27]
	v_fma_f64 v[100:101], v[132:133], s[22:23], v[222:223]
	v_add_f64 v[24:25], v[100:101], v[24:25]
	v_fma_f64 v[100:101], v[138:139], s[22:23], -v[238:239]
	v_add_f64 v[26:27], v[100:101], v[26:27]
	;; [unrolled: 4-line block ×6, first 2 shown]
	v_fma_f64 v[100:101], v[118:119], s[4:5], v[112:113]
	buffer_store_dword v23, off, s[64:67], 0 offset:44 ; 4-byte Folded Spill
	s_nop 0
	buffer_store_dword v24, off, s[64:67], 0 offset:48 ; 4-byte Folded Spill
	buffer_store_dword v25, off, s[64:67], 0 offset:52 ; 4-byte Folded Spill
	;; [unrolled: 1-line block ×3, first 2 shown]
	v_add_f64 v[82:83], v[100:101], v[82:83]
	v_mul_f64 v[100:101], v[106:107], s[48:49]
	s_waitcnt vmcnt(0)
	s_barrier
	buffer_load_dword v4, off, s[64:67], 0  ; 4-byte Folded Reload
	v_mov_b32_e32 v27, v14
	v_mov_b32_e32 v26, v13
	v_mov_b32_e32 v25, v12
	v_fma_f64 v[104:105], v[120:121], s[4:5], -v[100:101]
	v_mov_b32_e32 v24, v11
	v_add_f64 v[80:81], v[104:105], v[80:81]
	v_fma_f64 v[104:105], v[124:125], s[20:21], v[142:143]
	v_add_f64 v[82:83], v[104:105], v[82:83]
	v_mul_f64 v[104:105], v[154:155], s[40:41]
	v_fma_f64 v[106:107], v[126:127], s[20:21], -v[104:105]
	v_add_f64 v[80:81], v[106:107], v[80:81]
	v_mul_f64 v[106:107], v[168:169], s[46:47]
	v_fma_f64 v[114:115], v[132:133], s[6:7], v[106:107]
	v_add_f64 v[82:83], v[114:115], v[82:83]
	v_mul_f64 v[114:115], v[186:187], s[46:47]
	v_fma_f64 v[154:155], v[138:139], s[6:7], -v[114:115]
	v_add_f64 v[80:81], v[154:155], v[80:81]
	v_mul_f64 v[154:155], v[204:205], s[38:39]
	v_mul_f64 v[204:205], v[130:131], s[34:35]
	s_waitcnt vmcnt(0)
	v_mul_lo_u16_e32 v23, 17, v4
	v_fma_f64 v[168:169], v[144:145], s[22:23], v[154:155]
	v_add_f64 v[82:83], v[168:169], v[82:83]
	v_fma_f64 v[168:169], v[146:147], s[22:23], -v[216:217]
	v_add_f64 v[80:81], v[168:169], v[80:81]
	v_mul_f64 v[168:169], v[250:251], s[44:45]
	v_mul_f64 v[250:251], v[252:253], s[44:45]
	;; [unrolled: 1-line block ×3, first 2 shown]
	v_fma_f64 v[186:187], v[148:149], s[10:11], v[168:169]
	v_add_f64 v[82:83], v[186:187], v[82:83]
	v_fma_f64 v[186:187], v[150:151], s[10:11], -v[250:251]
	v_add_f64 v[80:81], v[186:187], v[80:81]
	v_mul_f64 v[186:187], v[116:117], s[36:37]
	v_fma_f64 v[116:117], v[156:157], s[18:19], v[186:187]
	v_add_f64 v[82:83], v[116:117], v[82:83]
	v_fma_f64 v[116:117], v[160:161], s[18:19], -v[252:253]
	v_add_f64 v[128:129], v[116:117], v[80:81]
	v_mul_f64 v[116:117], v[134:135], s[34:35]
	v_fma_f64 v[80:81], v[172:173], s[16:17], v[204:205]
	v_add_f64 v[80:81], v[80:81], v[82:83]
	v_fma_f64 v[82:83], v[174:175], s[16:17], -v[116:117]
	v_add_f64 v[82:83], v[82:83], v[128:129]
	s_and_saveexec_b64 s[26:27], s[0:1]
	s_cbranch_execz .LBB0_7
; %bb.6:
	v_add_f64 v[86:87], v[30:31], v[86:87]
	v_add_f64 v[84:85], v[28:29], v[84:85]
	buffer_load_dword v11, off, s[64:67], 0 offset:676 ; 4-byte Folded Reload
	buffer_load_dword v12, off, s[64:67], 0 offset:680 ; 4-byte Folded Reload
	v_mul_f64 v[128:129], v[110:111], s[10:11]
	v_mul_f64 v[130:131], v[120:121], s[22:23]
	;; [unrolled: 1-line block ×3, first 2 shown]
	v_add_f64 v[86:87], v[86:87], v[90:91]
	v_add_f64 v[84:85], v[84:85], v[88:89]
	v_mul_f64 v[90:91], v[146:147], s[22:23]
	v_mul_f64 v[88:89], v[150:151], s[10:11]
	v_add_f64 v[86:87], v[86:87], v[94:95]
	v_add_f64 v[84:85], v[84:85], v[92:93]
	;; [unrolled: 1-line block ×5, first 2 shown]
	v_mul_f64 v[98:99], v[126:127], s[20:21]
	v_add_f64 v[94:95], v[84:85], v[96:97]
	v_mul_f64 v[96:97], v[138:139], s[6:7]
	v_mul_f64 v[86:87], v[160:161], s[18:19]
	;; [unrolled: 1-line block ×3, first 2 shown]
	v_add_f64 v[78:79], v[92:93], v[78:79]
	v_add_f64 v[98:99], v[104:105], v[98:99]
	v_mul_f64 v[104:105], v[110:111], s[24:25]
	v_add_f64 v[96:97], v[114:115], v[96:97]
	v_mul_f64 v[114:115], v[118:119], s[4:5]
	v_add_f64 v[86:87], v[252:253], v[86:87]
	v_add_f64 v[84:85], v[116:117], v[84:85]
	;; [unrolled: 1-line block ×3, first 2 shown]
	v_mul_f64 v[94:95], v[110:111], s[22:23]
	v_mul_f64 v[76:77], v[126:127], s[4:5]
	v_add_f64 v[102:103], v[102:103], v[104:105]
	v_mul_f64 v[104:105], v[120:121], s[4:5]
	v_add_f64 v[112:113], v[114:115], -v[112:113]
	v_mul_f64 v[116:117], v[108:109], s[16:17]
	v_mul_f64 v[114:115], v[124:125], s[18:19]
	v_add_f64 v[42:43], v[78:79], v[42:43]
	v_add_f64 v[94:95], v[198:199], v[94:95]
	v_add_f64 v[76:77], v[206:207], v[76:77]
	v_add_f64 v[102:103], v[30:31], v[102:103]
	v_add_f64 v[100:101], v[100:101], v[104:105]
	v_mul_f64 v[104:105], v[108:109], s[24:25]
	v_add_f64 v[116:117], v[116:117], -v[5:6]
	v_add_f64 v[40:41], v[92:93], v[40:41]
	v_add_f64 v[34:35], v[42:43], v[34:35]
	;; [unrolled: 1-line block ×4, first 2 shown]
	v_add_f64 v[104:105], v[104:105], -v[254:255]
	v_mul_f64 v[102:103], v[124:125], s[20:21]
	v_add_f64 v[116:117], v[28:29], v[116:117]
	v_add_f64 v[32:33], v[40:41], v[32:33]
	;; [unrolled: 1-line block ×5, first 2 shown]
	v_add_f64 v[102:103], v[102:103], -v[142:143]
	v_mul_f64 v[104:105], v[132:133], s[6:7]
	v_mul_f64 v[142:143], v[160:161], s[16:17]
	v_add_f64 v[32:33], v[32:33], v[36:37]
	v_add_f64 v[34:35], v[34:35], v[46:47]
	;; [unrolled: 1-line block ×4, first 2 shown]
	v_mul_f64 v[112:113], v[118:119], s[20:21]
	v_add_f64 v[104:105], v[104:105], -v[106:107]
	v_mul_f64 v[106:107], v[108:109], s[18:19]
	v_add_f64 v[32:33], v[32:33], v[44:45]
	v_add_f64 v[34:35], v[34:35], v[50:51]
	;; [unrolled: 1-line block ×4, first 2 shown]
	v_mul_f64 v[102:103], v[144:145], s[22:23]
	v_add_f64 v[32:33], v[32:33], v[48:49]
	v_add_f64 v[34:35], v[34:35], v[54:55]
	;; [unrolled: 1-line block ×4, first 2 shown]
	v_add_f64 v[102:103], v[102:103], -v[154:155]
	v_mul_f64 v[100:101], v[148:149], s[10:11]
	v_mul_f64 v[104:105], v[120:121], s[20:21]
	v_mul_f64 v[154:155], v[120:121], s[6:7]
	v_add_f64 v[32:33], v[32:33], v[52:53]
	v_add_f64 v[34:35], v[34:35], v[58:59]
	;; [unrolled: 1-line block ×4, first 2 shown]
	v_add_f64 v[100:101], v[100:101], -v[168:169]
	v_mul_f64 v[98:99], v[156:157], s[18:19]
	v_add_f64 v[104:105], v[158:159], v[104:105]
	v_mul_f64 v[158:159], v[124:125], s[10:11]
	v_mul_f64 v[168:169], v[138:139], s[16:17]
	v_add_f64 v[86:87], v[84:85], v[86:87]
	v_add_f64 v[32:33], v[32:33], v[56:57]
	;; [unrolled: 1-line block ×4, first 2 shown]
	v_add_f64 v[98:99], v[98:99], -v[186:187]
	v_mul_f64 v[96:97], v[172:173], s[16:17]
	v_mul_f64 v[100:101], v[118:119], s[10:11]
	v_add_f64 v[32:33], v[32:33], v[60:61]
	v_add_f64 v[34:35], v[34:35], v[66:67]
	v_add_f64 v[88:89], v[98:99], v[90:91]
	v_add_f64 v[96:97], v[96:97], -v[204:205]
	v_mul_f64 v[90:91], v[110:111], s[20:21]
	v_mul_f64 v[98:99], v[108:109], s[20:21]
	v_add_f64 v[100:101], v[100:101], -v[220:221]
	v_add_f64 v[32:33], v[32:33], v[64:65]
	v_add_f64 v[54:55], v[34:35], v[70:71]
	;; [unrolled: 1-line block ×4, first 2 shown]
	v_mul_f64 v[96:97], v[120:121], s[10:11]
	v_mul_f64 v[88:89], v[126:127], s[16:17]
	v_add_f64 v[98:99], v[98:99], -v[218:219]
	v_add_f64 v[32:33], v[32:33], v[68:69]
	v_add_f64 v[90:91], v[30:31], v[90:91]
	;; [unrolled: 1-line block ×6, first 2 shown]
	v_mul_f64 v[96:97], v[138:139], s[22:23]
	v_add_f64 v[98:99], v[100:101], v[98:99]
	v_mul_f64 v[100:101], v[132:133], s[22:23]
	v_add_f64 v[88:89], v[88:89], v[90:91]
	v_add_f64 v[96:97], v[238:239], v[96:97]
	v_mul_f64 v[90:91], v[146:147], s[4:5]
	v_add_f64 v[100:101], v[100:101], -v[222:223]
	v_add_f64 v[88:89], v[96:97], v[88:89]
	v_add_f64 v[90:91], v[242:243], v[90:91]
	v_mul_f64 v[96:97], v[150:151], s[24:25]
	v_add_f64 v[88:89], v[90:91], v[88:89]
	v_add_f64 v[96:97], v[244:245], v[96:97]
	v_mul_f64 v[90:91], v[160:161], s[6:7]
	;; [unrolled: 3-line block ×3, first 2 shown]
	v_add_f64 v[88:89], v[90:91], v[88:89]
	v_mul_f64 v[90:91], v[124:125], s[16:17]
	v_add_f64 v[96:97], v[248:249], v[96:97]
	v_add_f64 v[90:91], v[90:91], -v[224:225]
	v_add_f64 v[90:91], v[90:91], v[98:99]
	v_mul_f64 v[98:99], v[144:145], s[4:5]
	v_add_f64 v[90:91], v[100:101], v[90:91]
	v_add_f64 v[98:99], v[98:99], -v[226:227]
	v_mul_f64 v[100:101], v[148:149], s[24:25]
	v_add_f64 v[90:91], v[98:99], v[90:91]
	v_add_f64 v[100:101], v[100:101], -v[228:229]
	;; [unrolled: 3-line block ×3, first 2 shown]
	v_mul_f64 v[100:101], v[172:173], s[18:19]
	v_add_f64 v[98:99], v[98:99], v[90:91]
	v_add_f64 v[90:91], v[96:97], v[88:89]
	v_mul_f64 v[96:97], v[120:121], s[18:19]
	v_add_f64 v[100:101], v[100:101], -v[232:233]
	v_add_f64 v[96:97], v[200:201], v[96:97]
	v_add_f64 v[88:89], v[100:101], v[98:99]
	v_mul_f64 v[98:99], v[108:109], s[22:23]
	v_mul_f64 v[100:101], v[118:119], s[18:19]
	v_add_f64 v[94:95], v[96:97], v[94:95]
	v_mul_f64 v[96:97], v[138:139], s[20:21]
	v_add_f64 v[98:99], v[98:99], -v[122:123]
	v_add_f64 v[100:101], v[100:101], -v[182:183]
	v_mul_f64 v[122:123], v[118:119], s[24:25]
	v_mul_f64 v[181:182], v[160:161], s[20:21]
	v_add_f64 v[76:77], v[76:77], v[94:95]
	v_add_f64 v[96:97], v[202:203], v[96:97]
	v_mul_f64 v[94:95], v[146:147], s[16:17]
	v_add_f64 v[98:99], v[28:29], v[98:99]
	v_add_f64 v[76:77], v[96:97], v[76:77]
	;; [unrolled: 1-line block ×3, first 2 shown]
	v_mul_f64 v[96:97], v[150:151], s[6:7]
	v_add_f64 v[98:99], v[100:101], v[98:99]
	v_mul_f64 v[100:101], v[132:133], s[20:21]
	v_add_f64 v[76:77], v[94:95], v[76:77]
	v_add_f64 v[96:97], v[210:211], v[96:97]
	v_mul_f64 v[94:95], v[160:161], s[24:25]
	v_add_f64 v[100:101], v[100:101], -v[184:185]
	v_mul_f64 v[183:184], v[174:175], s[24:25]
	v_mul_f64 v[185:186], v[174:175], s[4:5]
	v_add_f64 v[76:77], v[96:97], v[76:77]
	v_add_f64 v[94:95], v[212:213], v[94:95]
	v_mul_f64 v[96:97], v[174:175], s[10:11]
	v_add_f64 v[76:77], v[94:95], v[76:77]
	v_mul_f64 v[94:95], v[124:125], s[4:5]
	v_add_f64 v[96:97], v[214:215], v[96:97]
	v_add_f64 v[94:95], v[94:95], -v[188:189]
	v_add_f64 v[76:77], v[96:97], v[76:77]
	v_add_f64 v[94:95], v[94:95], v[98:99]
	v_mul_f64 v[98:99], v[144:145], s[16:17]
	v_add_f64 v[94:95], v[100:101], v[94:95]
	v_add_f64 v[98:99], v[98:99], -v[190:191]
	v_mul_f64 v[100:101], v[148:149], s[6:7]
	v_add_f64 v[94:95], v[98:99], v[94:95]
	v_add_f64 v[100:101], v[100:101], -v[192:193]
	v_mul_f64 v[98:99], v[156:157], s[24:25]
	v_add_f64 v[94:95], v[100:101], v[94:95]
	v_add_f64 v[98:99], v[98:99], -v[194:195]
	v_mul_f64 v[100:101], v[172:173], s[10:11]
	v_add_f64 v[102:103], v[98:99], v[94:95]
	v_mul_f64 v[98:99], v[110:111], s[18:19]
	v_mul_f64 v[94:95], v[126:127], s[6:7]
	v_add_f64 v[100:101], v[100:101], -v[196:197]
	v_add_f64 v[98:99], v[152:153], v[98:99]
	v_add_f64 v[94:95], v[164:165], v[94:95]
	v_mul_f64 v[152:153], v[144:145], s[6:7]
	v_mul_f64 v[164:165], v[124:125], s[22:23]
	v_add_f64 v[98:99], v[30:31], v[98:99]
	v_add_f64 v[98:99], v[104:105], v[98:99]
	v_mul_f64 v[104:105], v[138:139], s[10:11]
	v_add_f64 v[94:95], v[94:95], v[98:99]
	v_add_f64 v[104:105], v[162:163], v[104:105]
	v_mul_f64 v[98:99], v[146:147], s[24:25]
	v_mul_f64 v[162:163], v[126:127], s[10:11]
	v_add_f64 v[94:95], v[104:105], v[94:95]
	v_add_f64 v[98:99], v[166:167], v[98:99]
	v_mul_f64 v[104:105], v[150:151], s[16:17]
	;; [unrolled: 4-line block ×4, first 2 shown]
	v_mul_f64 v[104:105], v[174:175], s[22:23]
	v_add_f64 v[94:95], v[98:99], v[94:95]
	v_mul_f64 v[98:99], v[124:125], s[6:7]
	v_mul_f64 v[124:125], v[124:125], s[24:25]
	v_add_f64 v[104:105], v[178:179], v[104:105]
	v_mul_f64 v[178:179], v[150:151], s[22:23]
	s_waitcnt vmcnt(0)
	v_add_f64 v[98:99], v[98:99], -v[11:12]
	buffer_load_dword v11, off, s[64:67], 0 offset:652 ; 4-byte Folded Reload
	buffer_load_dword v12, off, s[64:67], 0 offset:656 ; 4-byte Folded Reload
	v_add_f64 v[94:95], v[104:105], v[94:95]
	s_waitcnt vmcnt(0)
	v_add_f64 v[106:107], v[106:107], -v[11:12]
	buffer_load_dword v11, off, s[64:67], 0 offset:660 ; 4-byte Folded Reload
	buffer_load_dword v12, off, s[64:67], 0 offset:664 ; 4-byte Folded Reload
	v_add_f64 v[106:107], v[28:29], v[106:107]
	;; [unrolled: 5-line block ×3, first 2 shown]
	v_mul_f64 v[112:113], v[132:133], s[10:11]
	v_add_f64 v[98:99], v[98:99], v[106:107]
	v_mul_f64 v[106:107], v[144:145], s[24:25]
	v_add_f64 v[2:3], v[106:107], -v[2:3]
	v_mul_f64 v[106:107], v[148:149], s[16:17]
	v_add_f64 v[0:1], v[106:107], -v[0:1]
	v_mul_f64 v[106:107], v[110:111], s[16:17]
	s_waitcnt vmcnt(0)
	v_add_f64 v[112:113], v[112:113], -v[11:12]
	buffer_load_dword v11, off, s[64:67], 0 offset:612 ; 4-byte Folded Reload
	buffer_load_dword v12, off, s[64:67], 0 offset:616 ; 4-byte Folded Reload
	v_add_f64 v[98:99], v[112:113], v[98:99]
	v_mul_f64 v[112:113], v[120:121], s[24:25]
	v_mul_f64 v[120:121], v[120:121], s[16:17]
	v_add_f64 v[2:3], v[2:3], v[98:99]
	v_mul_f64 v[98:99], v[156:157], s[4:5]
	v_add_f64 v[0:1], v[0:1], v[2:3]
	v_add_f64 v[98:99], v[98:99], -v[136:137]
	v_mul_f64 v[136:137], v[150:151], s[4:5]
	v_mul_f64 v[2:3], v[172:173], s[22:23]
	v_add_f64 v[0:1], v[98:99], v[0:1]
	v_mul_f64 v[98:99], v[126:127], s[18:19]
	v_add_f64 v[2:3], v[2:3], -v[140:141]
	v_mul_f64 v[140:141], v[110:111], s[4:5]
	v_mul_f64 v[110:111], v[110:111], s[6:7]
	s_waitcnt vmcnt(0)
	v_add_f64 v[98:99], v[11:12], v[98:99]
	buffer_load_dword v11, off, s[64:67], 0 offset:580 ; 4-byte Folded Reload
	buffer_load_dword v12, off, s[64:67], 0 offset:584 ; 4-byte Folded Reload
	s_waitcnt vmcnt(0)
	v_add_f64 v[106:107], v[11:12], v[106:107]
	buffer_load_dword v11, off, s[64:67], 0 offset:588 ; 4-byte Folded Reload
	buffer_load_dword v12, off, s[64:67], 0 offset:592 ; 4-byte Folded Reload
	v_add_f64 v[106:107], v[30:31], v[106:107]
	s_waitcnt vmcnt(0)
	v_add_f64 v[112:113], v[11:12], v[112:113]
	buffer_load_dword v11, off, s[64:67], 0 offset:604 ; 4-byte Folded Reload
	buffer_load_dword v12, off, s[64:67], 0 offset:608 ; 4-byte Folded Reload
	v_add_f64 v[106:107], v[112:113], v[106:107]
	v_mul_f64 v[112:113], v[138:139], s[4:5]
	v_add_f64 v[98:99], v[98:99], v[106:107]
	v_mul_f64 v[106:107], v[146:147], s[10:11]
	s_waitcnt vmcnt(0)
	v_add_f64 v[112:113], v[11:12], v[112:113]
	buffer_load_dword v11, off, s[64:67], 0 offset:620 ; 4-byte Folded Reload
	buffer_load_dword v12, off, s[64:67], 0 offset:624 ; 4-byte Folded Reload
	v_add_f64 v[98:99], v[112:113], v[98:99]
	v_mul_f64 v[112:113], v[150:151], s[20:21]
	v_mul_f64 v[150:151], v[150:151], s[18:19]
	s_waitcnt vmcnt(0)
	v_add_f64 v[106:107], v[11:12], v[106:107]
	buffer_load_dword v11, off, s[64:67], 0 offset:628 ; 4-byte Folded Reload
	buffer_load_dword v12, off, s[64:67], 0 offset:632 ; 4-byte Folded Reload
	v_add_f64 v[98:99], v[106:107], v[98:99]
	v_mul_f64 v[106:107], v[160:161], s[22:23]
	;; [unrolled: 7-line block ×4, first 2 shown]
	s_waitcnt vmcnt(0)
	v_add_f64 v[112:113], v[11:12], v[112:113]
	buffer_load_dword v11, off, s[64:67], 0 offset:596 ; 4-byte Folded Reload
	buffer_load_dword v12, off, s[64:67], 0 offset:600 ; 4-byte Folded Reload
	v_add_f64 v[98:99], v[112:113], v[98:99]
	s_waitcnt vmcnt(0)
	v_add_f64 v[106:107], v[106:107], -v[11:12]
	buffer_load_dword v11, off, s[64:67], 0 offset:564 ; 4-byte Folded Reload
	buffer_load_dword v12, off, s[64:67], 0 offset:568 ; 4-byte Folded Reload
	;; [unrolled: 1-line block ×4, first 2 shown]
	s_waitcnt vmcnt(2)
	v_add_f64 v[114:115], v[114:115], -v[11:12]
	s_waitcnt vmcnt(0)
	v_add_f64 v[122:123], v[122:123], -v[4:5]
	buffer_load_dword v4, off, s[64:67], 0 offset:556 ; 4-byte Folded Reload
	buffer_load_dword v5, off, s[64:67], 0 offset:560 ; 4-byte Folded Reload
	v_add_f64 v[116:117], v[122:123], v[116:117]
	v_mul_f64 v[122:123], v[132:133], s[4:5]
	v_add_f64 v[114:115], v[114:115], v[116:117]
	v_mul_f64 v[116:117], v[144:145], s[10:11]
	v_mul_f64 v[144:145], v[144:145], s[20:21]
	s_waitcnt vmcnt(0)
	v_add_f64 v[122:123], v[122:123], -v[4:5]
	buffer_load_dword v4, off, s[64:67], 0 offset:572 ; 4-byte Folded Reload
	buffer_load_dword v5, off, s[64:67], 0 offset:576 ; 4-byte Folded Reload
	v_add_f64 v[114:115], v[122:123], v[114:115]
	v_mul_f64 v[122:123], v[126:127], s[24:25]
	v_mul_f64 v[126:127], v[126:127], s[22:23]
	s_waitcnt vmcnt(0)
	v_add_f64 v[116:117], v[116:117], -v[4:5]
	buffer_load_dword v4, off, s[64:67], 0 offset:492 ; 4-byte Folded Reload
	buffer_load_dword v5, off, s[64:67], 0 offset:496 ; 4-byte Folded Reload
	v_add_f64 v[114:115], v[116:117], v[114:115]
	v_mul_f64 v[116:117], v[108:109], s[4:5]
	v_add_f64 v[106:107], v[106:107], v[114:115]
	v_mul_f64 v[114:115], v[108:109], s[6:7]
	v_mul_f64 v[108:109], v[108:109], s[10:11]
	s_waitcnt vmcnt(0)
	v_add_f64 v[122:123], v[4:5], v[122:123]
	buffer_load_dword v4, off, s[64:67], 0 offset:476 ; 4-byte Folded Reload
	buffer_load_dword v5, off, s[64:67], 0 offset:480 ; 4-byte Folded Reload
	s_waitcnt vmcnt(0)
	v_add_f64 v[128:129], v[4:5], v[128:129]
	buffer_load_dword v4, off, s[64:67], 0 offset:484 ; 4-byte Folded Reload
	buffer_load_dword v5, off, s[64:67], 0 offset:488 ; 4-byte Folded Reload
	v_add_f64 v[128:129], v[30:31], v[128:129]
	s_waitcnt vmcnt(0)
	v_add_f64 v[130:131], v[4:5], v[130:131]
	buffer_load_dword v4, off, s[64:67], 0 offset:500 ; 4-byte Folded Reload
	buffer_load_dword v5, off, s[64:67], 0 offset:504 ; 4-byte Folded Reload
	v_add_f64 v[128:129], v[130:131], v[128:129]
	v_mul_f64 v[130:131], v[138:139], s[18:19]
	v_mul_f64 v[138:139], v[138:139], s[24:25]
	v_add_f64 v[122:123], v[122:123], v[128:129]
	v_mul_f64 v[128:129], v[146:147], s[6:7]
	v_mul_f64 v[146:147], v[146:147], s[20:21]
	s_waitcnt vmcnt(0)
	v_add_f64 v[130:131], v[4:5], v[130:131]
	buffer_load_dword v4, off, s[64:67], 0 offset:548 ; 4-byte Folded Reload
	buffer_load_dword v5, off, s[64:67], 0 offset:552 ; 4-byte Folded Reload
	v_add_f64 v[122:123], v[130:131], v[122:123]
	v_mul_f64 v[130:131], v[172:173], s[6:7]
	s_waitcnt vmcnt(0)
	v_add_f64 v[134:135], v[134:135], -v[4:5]
	buffer_load_dword v4, off, s[64:67], 0 offset:508 ; 4-byte Folded Reload
	buffer_load_dword v5, off, s[64:67], 0 offset:512 ; 4-byte Folded Reload
	v_add_f64 v[106:107], v[134:135], v[106:107]
	v_mul_f64 v[134:135], v[132:133], s[18:19]
	v_mul_f64 v[132:133], v[132:133], s[24:25]
	s_waitcnt vmcnt(0)
	v_add_f64 v[128:129], v[4:5], v[128:129]
	buffer_load_dword v4, off, s[64:67], 0 offset:516 ; 4-byte Folded Reload
	buffer_load_dword v5, off, s[64:67], 0 offset:520 ; 4-byte Folded Reload
	v_add_f64 v[122:123], v[128:129], v[122:123]
	v_mul_f64 v[128:129], v[118:119], s[6:7]
	s_waitcnt vmcnt(0)
	v_add_f64 v[136:137], v[4:5], v[136:137]
	buffer_load_dword v4, off, s[64:67], 0 offset:532 ; 4-byte Folded Reload
	buffer_load_dword v5, off, s[64:67], 0 offset:536 ; 4-byte Folded Reload
	v_add_f64 v[122:123], v[136:137], v[122:123]
	v_mul_f64 v[136:137], v[118:119], s[16:17]
	v_mul_f64 v[118:119], v[118:119], s[22:23]
	s_waitcnt vmcnt(0)
	v_add_f64 v[130:131], v[130:131], -v[4:5]
	buffer_load_dword v4, off, s[64:67], 0 offset:524 ; 4-byte Folded Reload
	buffer_load_dword v5, off, s[64:67], 0 offset:528 ; 4-byte Folded Reload
	s_waitcnt vmcnt(0)
	v_add_f64 v[142:143], v[4:5], v[142:143]
	buffer_load_dword v4, off, s[64:67], 0 offset:468 ; 4-byte Folded Reload
	buffer_load_dword v5, off, s[64:67], 0 offset:472 ; 4-byte Folded Reload
	s_waitcnt vmcnt(0)
	v_add_f64 v[152:153], v[152:153], -v[4:5]
	buffer_load_dword v4, off, s[64:67], 0 offset:460 ; 4-byte Folded Reload
	buffer_load_dword v5, off, s[64:67], 0 offset:464 ; 4-byte Folded Reload
	s_waitcnt vmcnt(0)
	v_add_f64 v[134:135], v[134:135], -v[4:5]
	;; [unrolled: 4-line block ×3, first 2 shown]
	buffer_load_dword v4, off, s[64:67], 0 offset:444 ; 4-byte Folded Reload
	buffer_load_dword v5, off, s[64:67], 0 offset:448 ; 4-byte Folded Reload
	v_add_f64 v[108:109], v[28:29], v[108:109]
	s_waitcnt vmcnt(0)
	v_add_f64 v[118:119], v[118:119], -v[4:5]
	buffer_load_dword v4, off, s[64:67], 0 offset:372 ; 4-byte Folded Reload
	buffer_load_dword v5, off, s[64:67], 0 offset:376 ; 4-byte Folded Reload
	v_add_f64 v[108:109], v[118:119], v[108:109]
	v_mul_f64 v[118:119], v[148:149], s[22:23]
	s_waitcnt vmcnt(0)
	v_add_f64 v[110:111], v[4:5], v[110:111]
	buffer_load_dword v4, off, s[64:67], 0 offset:452 ; 4-byte Folded Reload
	buffer_load_dword v5, off, s[64:67], 0 offset:456 ; 4-byte Folded Reload
	v_add_f64 v[110:111], v[30:31], v[110:111]
	s_waitcnt vmcnt(0)
	v_add_f64 v[124:125], v[124:125], -v[4:5]
	buffer_load_dword v4, off, s[64:67], 0 offset:364 ; 4-byte Folded Reload
	buffer_load_dword v5, off, s[64:67], 0 offset:368 ; 4-byte Folded Reload
	v_add_f64 v[108:109], v[124:125], v[108:109]
	v_mul_f64 v[124:125], v[156:157], s[20:21]
	v_add_f64 v[108:109], v[134:135], v[108:109]
	v_mul_f64 v[134:135], v[172:173], s[24:25]
	v_add_f64 v[104:105], v[152:153], v[108:109]
	v_add_f64 v[108:109], v[142:143], v[122:123]
	s_waitcnt vmcnt(0)
	v_add_f64 v[120:121], v[4:5], v[120:121]
	buffer_load_dword v4, off, s[64:67], 0 offset:356 ; 4-byte Folded Reload
	buffer_load_dword v5, off, s[64:67], 0 offset:360 ; 4-byte Folded Reload
	v_add_f64 v[110:111], v[120:121], v[110:111]
	v_mul_f64 v[120:121], v[148:149], s[18:19]
	v_mul_f64 v[148:149], v[148:149], s[4:5]
	s_waitcnt vmcnt(0)
	v_add_f64 v[126:127], v[4:5], v[126:127]
	buffer_load_dword v4, off, s[64:67], 0 offset:348 ; 4-byte Folded Reload
	buffer_load_dword v5, off, s[64:67], 0 offset:352 ; 4-byte Folded Reload
	v_add_f64 v[110:111], v[126:127], v[110:111]
	v_mul_f64 v[126:127], v[156:157], s[10:11]
	v_mul_f64 v[156:157], v[156:157], s[16:17]
	;; [unrolled: 7-line block ×3, first 2 shown]
	s_waitcnt vmcnt(0)
	v_add_f64 v[146:147], v[4:5], v[146:147]
	buffer_load_dword v4, off, s[64:67], 0 offset:388 ; 4-byte Folded Reload
	buffer_load_dword v5, off, s[64:67], 0 offset:392 ; 4-byte Folded Reload
	v_add_f64 v[96:97], v[146:147], v[110:111]
	s_waitcnt vmcnt(0)
	v_add_f64 v[150:151], v[4:5], v[150:151]
	buffer_load_dword v4, off, s[64:67], 0 offset:428 ; 4-byte Folded Reload
	buffer_load_dword v5, off, s[64:67], 0 offset:432 ; 4-byte Folded Reload
	v_add_f64 v[96:97], v[150:151], v[96:97]
	s_waitcnt vmcnt(0)
	v_add_f64 v[78:79], v[4:5], v[174:175]
	buffer_load_dword v4, off, s[64:67], 0 offset:404 ; 4-byte Folded Reload
	buffer_load_dword v5, off, s[64:67], 0 offset:408 ; 4-byte Folded Reload
	s_waitcnt vmcnt(0)
	v_add_f64 v[92:93], v[148:149], -v[4:5]
	buffer_load_dword v4, off, s[64:67], 0 offset:380 ; 4-byte Folded Reload
	buffer_load_dword v5, off, s[64:67], 0 offset:384 ; 4-byte Folded Reload
	v_add_f64 v[42:43], v[92:93], v[104:105]
	s_waitcnt vmcnt(0)
	v_add_f64 v[110:111], v[4:5], v[160:161]
	buffer_load_dword v4, off, s[64:67], 0 offset:420 ; 4-byte Folded Reload
	buffer_load_dword v5, off, s[64:67], 0 offset:424 ; 4-byte Folded Reload
	v_add_f64 v[96:97], v[110:111], v[96:97]
	s_waitcnt vmcnt(0)
	v_add_f64 v[112:113], v[172:173], -v[4:5]
	buffer_load_dword v4, off, s[64:67], 0 offset:412 ; 4-byte Folded Reload
	buffer_load_dword v5, off, s[64:67], 0 offset:416 ; 4-byte Folded Reload
	s_waitcnt vmcnt(0)
	v_add_f64 v[40:41], v[156:157], -v[4:5]
	buffer_load_dword v4, off, s[64:67], 0 offset:396 ; 4-byte Folded Reload
	buffer_load_dword v5, off, s[64:67], 0 offset:400 ; 4-byte Folded Reload
	s_waitcnt vmcnt(0)
	v_add_f64 v[92:93], v[4:5], v[185:186]
	buffer_load_dword v4, off, s[64:67], 0 offset:76 ; 4-byte Folded Reload
	buffer_load_dword v5, off, s[64:67], 0 offset:80 ; 4-byte Folded Reload
	v_add_f64 v[34:35], v[92:93], v[96:97]
	v_add_f64 v[96:97], v[130:131], v[106:107]
	;; [unrolled: 1-line block ×3, first 2 shown]
	v_lshlrev_b32_e32 v0, 4, v23
	s_waitcnt vmcnt(0)
	v_add_f64 v[104:105], v[4:5], v[140:141]
	buffer_load_dword v4, off, s[64:67], 0 offset:60 ; 4-byte Folded Reload
	buffer_load_dword v5, off, s[64:67], 0 offset:64 ; 4-byte Folded Reload
	v_add_f64 v[30:31], v[30:31], v[104:105]
	s_waitcnt vmcnt(0)
	v_add_f64 v[36:37], v[116:117], -v[4:5]
	buffer_load_dword v4, off, s[64:67], 0 offset:276 ; 4-byte Folded Reload
	buffer_load_dword v5, off, s[64:67], 0 offset:280 ; 4-byte Folded Reload
	v_add_f64 v[36:37], v[28:29], v[36:37]
	s_waitcnt vmcnt(0)
	v_add_f64 v[38:39], v[114:115], -v[4:5]
	buffer_load_dword v4, off, s[64:67], 0 offset:284 ; 4-byte Folded Reload
	buffer_load_dword v5, off, s[64:67], 0 offset:288 ; 4-byte Folded Reload
	v_add_f64 v[28:29], v[28:29], v[38:39]
	s_waitcnt vmcnt(0)
	v_add_f64 v[110:111], v[136:137], -v[4:5]
	buffer_load_dword v4, off, s[64:67], 0 offset:108 ; 4-byte Folded Reload
	buffer_load_dword v5, off, s[64:67], 0 offset:112 ; 4-byte Folded Reload
	v_add_f64 v[28:29], v[110:111], v[28:29]
	s_waitcnt vmcnt(0)
	v_add_f64 v[114:115], v[4:5], v[154:155]
	buffer_load_dword v4, off, s[64:67], 0 offset:92 ; 4-byte Folded Reload
	buffer_load_dword v5, off, s[64:67], 0 offset:96 ; 4-byte Folded Reload
	v_add_f64 v[30:31], v[114:115], v[30:31]
	s_waitcnt vmcnt(0)
	v_add_f64 v[104:105], v[128:129], -v[4:5]
	buffer_load_dword v4, off, s[64:67], 0 offset:292 ; 4-byte Folded Reload
	buffer_load_dword v5, off, s[64:67], 0 offset:296 ; 4-byte Folded Reload
	v_add_f64 v[36:37], v[104:105], v[36:37]
	s_waitcnt vmcnt(0)
	v_add_f64 v[38:39], v[164:165], -v[4:5]
	buffer_load_dword v4, off, s[64:67], 0 offset:140 ; 4-byte Folded Reload
	buffer_load_dword v5, off, s[64:67], 0 offset:144 ; 4-byte Folded Reload
	v_add_f64 v[28:29], v[38:39], v[28:29]
	s_waitcnt vmcnt(0)
	v_add_f64 v[44:45], v[4:5], v[162:163]
	buffer_load_dword v4, off, s[64:67], 0 offset:124 ; 4-byte Folded Reload
	buffer_load_dword v5, off, s[64:67], 0 offset:128 ; 4-byte Folded Reload
	v_add_f64 v[30:31], v[44:45], v[30:31]
	s_waitcnt vmcnt(0)
	v_add_f64 v[46:47], v[158:159], -v[4:5]
	buffer_load_dword v4, off, s[64:67], 0 offset:300 ; 4-byte Folded Reload
	buffer_load_dword v5, off, s[64:67], 0 offset:304 ; 4-byte Folded Reload
	v_add_f64 v[36:37], v[46:47], v[36:37]
	s_waitcnt vmcnt(0)
	v_add_f64 v[48:49], v[132:133], -v[4:5]
	;; [unrolled: 15-line block ×5, first 2 shown]
	buffer_load_dword v4, off, s[64:67], 0 offset:252 ; 4-byte Folded Reload
	buffer_load_dword v5, off, s[64:67], 0 offset:256 ; 4-byte Folded Reload
	v_add_f64 v[28:29], v[38:39], v[28:29]
	s_waitcnt vmcnt(0)
	v_add_f64 v[50:51], v[4:5], v[181:182]
	buffer_load_dword v4, off, s[64:67], 0 offset:244 ; 4-byte Folded Reload
	buffer_load_dword v5, off, s[64:67], 0 offset:248 ; 4-byte Folded Reload
	v_add_f64 v[50:51], v[50:51], v[30:31]
	v_add_f64 v[30:31], v[78:79], v[108:109]
	s_waitcnt vmcnt(0)
	v_add_f64 v[48:49], v[124:125], -v[4:5]
	buffer_load_dword v4, off, s[64:67], 0 offset:332 ; 4-byte Folded Reload
	buffer_load_dword v5, off, s[64:67], 0 offset:336 ; 4-byte Folded Reload
	v_add_f64 v[36:37], v[48:49], v[36:37]
	v_add_f64 v[48:49], v[40:41], v[42:43]
	;; [unrolled: 1-line block ×5, first 2 shown]
	s_waitcnt vmcnt(0)
	v_add_f64 v[44:45], v[138:139], -v[4:5]
	buffer_load_dword v4, off, s[64:67], 0 offset:268 ; 4-byte Folded Reload
	buffer_load_dword v5, off, s[64:67], 0 offset:272 ; 4-byte Folded Reload
	v_add_f64 v[32:33], v[44:45], v[28:29]
	v_add_f64 v[28:29], v[112:113], v[48:49]
	s_waitcnt vmcnt(0)
	v_add_f64 v[46:47], v[4:5], v[183:184]
	buffer_load_dword v4, off, s[64:67], 0 offset:260 ; 4-byte Folded Reload
	buffer_load_dword v5, off, s[64:67], 0 offset:264 ; 4-byte Folded Reload
	v_add_f64 v[38:39], v[46:47], v[50:51]
	s_waitcnt vmcnt(0)
	v_add_f64 v[52:53], v[134:135], -v[4:5]
	v_add_f64 v[36:37], v[52:53], v[36:37]
	ds_write_b128 v0, v[40:43]
	ds_write_b128 v0, v[36:39] offset:16
	ds_write_b128 v0, v[32:35] offset:32
	;; [unrolled: 1-line block ×9, first 2 shown]
	buffer_load_dword v1, off, s[64:67], 0 offset:44 ; 4-byte Folded Reload
	buffer_load_dword v2, off, s[64:67], 0 offset:48 ; 4-byte Folded Reload
	;; [unrolled: 1-line block ×4, first 2 shown]
	s_waitcnt vmcnt(0)
	ds_write_b128 v0, v[1:4] offset:160
	ds_write_b128 v0, v[7:10] offset:176
	;; [unrolled: 1-line block ×5, first 2 shown]
	buffer_load_dword v1, off, s[64:67], 0 offset:20 ; 4-byte Folded Reload
	buffer_load_dword v2, off, s[64:67], 0 offset:24 ; 4-byte Folded Reload
	;; [unrolled: 1-line block ×4, first 2 shown]
	s_waitcnt vmcnt(0)
	ds_write_b128 v0, v[1:4] offset:240
	buffer_load_dword v1, off, s[64:67], 0 offset:4 ; 4-byte Folded Reload
	buffer_load_dword v2, off, s[64:67], 0 offset:8 ; 4-byte Folded Reload
	;; [unrolled: 1-line block ×4, first 2 shown]
	s_waitcnt vmcnt(0)
	ds_write_b128 v0, v[1:4] offset:256
.LBB0_7:
	s_or_b64 exec, exec, s[26:27]
	s_load_dwordx4 s[4:7], s[2:3], 0x0
	s_waitcnt lgkmcnt(0)
	s_barrier
	buffer_load_dword v185, off, s[64:67], 0 ; 4-byte Folded Reload
	s_movk_i32 s2, 0xf1
	s_mov_b32 s26, 0xa2cf5039
	s_mov_b32 s17, 0x3fe491b7
	;; [unrolled: 1-line block ×13, first 2 shown]
	s_waitcnt vmcnt(0)
	v_mul_lo_u16_sdwa v0, v185, s2 dst_sel:DWORD dst_unused:UNUSED_PAD src0_sel:BYTE_0 src1_sel:DWORD
	v_lshrrev_b16_e32 v4, 12, v0
	v_mul_lo_u16_e32 v0, 17, v4
	v_sub_u16_e32 v0, v185, v0
	v_and_b32_e32 v5, 0xff, v0
	v_lshlrev_b32_e32 v0, 7, v5
	global_load_dwordx4 v[52:55], v0, s[8:9]
	global_load_dwordx4 v[48:51], v0, s[8:9] offset:16
	global_load_dwordx4 v[44:47], v0, s[8:9] offset:32
	;; [unrolled: 1-line block ×7, first 2 shown]
	ds_read_b128 v[60:63], v180
	ds_read_b128 v[64:67], v180 offset:1632
	ds_read_b128 v[68:71], v180 offset:3264
	;; [unrolled: 1-line block ×8, first 2 shown]
	s_mov_b32 s2, 0xe8584cab
	s_mov_b32 s3, 0x3febb67a
	;; [unrolled: 1-line block ×3, first 2 shown]
	s_waitcnt vmcnt(7) lgkmcnt(7)
	v_mul_f64 v[0:1], v[66:67], v[54:55]
	s_waitcnt vmcnt(6) lgkmcnt(6)
	v_mul_f64 v[100:101], v[70:71], v[50:51]
	;; [unrolled: 2-line block ×4, first 2 shown]
	v_mul_f64 v[2:3], v[64:65], v[54:55]
	v_mul_f64 v[102:103], v[68:69], v[50:51]
	;; [unrolled: 1-line block ×3, first 2 shown]
	s_waitcnt vmcnt(0) lgkmcnt(0)
	v_mul_f64 v[124:125], v[98:99], v[30:31]
	v_mul_f64 v[110:111], v[76:77], v[42:43]
	;; [unrolled: 1-line block ×4, first 2 shown]
	v_fma_f64 v[0:1], v[64:65], v[52:53], -v[0:1]
	v_fma_f64 v[64:65], v[68:69], v[48:49], -v[100:101]
	;; [unrolled: 1-line block ×5, first 2 shown]
	buffer_store_dword v28, off, s[64:67], 0 offset:76 ; 4-byte Folded Spill
	s_nop 0
	buffer_store_dword v29, off, s[64:67], 0 offset:80 ; 4-byte Folded Spill
	buffer_store_dword v30, off, s[64:67], 0 offset:84 ; 4-byte Folded Spill
	;; [unrolled: 1-line block ×3, first 2 shown]
	v_mul_f64 v[122:123], v[92:93], v[13:14]
	v_fma_f64 v[92:93], v[92:93], v[11:12], -v[120:121]
	buffer_store_dword v11, off, s[64:67], 0 offset:60 ; 4-byte Folded Spill
	s_nop 0
	buffer_store_dword v12, off, s[64:67], 0 offset:64 ; 4-byte Folded Spill
	buffer_store_dword v13, off, s[64:67], 0 offset:68 ; 4-byte Folded Spill
	;; [unrolled: 1-line block ×3, first 2 shown]
	v_mul_f64 v[112:113], v[86:87], v[251:252]
	v_mul_f64 v[114:115], v[84:85], v[251:252]
	;; [unrolled: 1-line block ×4, first 2 shown]
	v_fma_f64 v[2:3], v[66:67], v[52:53], v[2:3]
	v_fma_f64 v[66:67], v[70:71], v[48:49], v[102:103]
	;; [unrolled: 1-line block ×4, first 2 shown]
	v_fma_f64 v[96:97], v[84:85], v[249:250], -v[112:113]
	v_add_f64 v[100:101], v[0:1], v[76:77]
	v_fma_f64 v[88:89], v[88:89], v[56:57], -v[116:117]
	v_fma_f64 v[90:91], v[90:91], v[56:57], v[118:119]
	v_add_f64 v[0:1], v[0:1], -v[76:77]
	v_add_f64 v[84:85], v[64:65], v[92:93]
	v_add_f64 v[64:65], v[64:65], -v[92:93]
	v_add_f64 v[76:77], v[72:73], -v[96:97]
	v_fma_f64 v[108:109], v[100:101], s[26:27], v[60:61]
	v_add_f64 v[104:105], v[68:69], v[88:89]
	v_add_f64 v[106:107], v[70:71], v[90:91]
	v_add_f64 v[68:69], v[68:69], -v[88:89]
	v_add_f64 v[70:71], v[70:71], -v[90:91]
	v_mul_f64 v[92:93], v[0:1], s[16:17]
	v_add_f64 v[124:125], v[84:85], v[100:101]
	v_add_f64 v[116:117], v[76:77], v[0:1]
	v_fma_f64 v[108:109], v[84:85], s[22:23], v[108:109]
	v_mul_f64 v[128:129], v[76:77], s[18:19]
	v_fma_f64 v[132:133], v[84:85], s[26:27], v[60:61]
	v_add_f64 v[120:121], v[60:61], v[104:105]
	s_waitcnt vmcnt(0)
	s_barrier
	v_fma_f64 v[92:93], v[64:65], s[18:19], v[92:93]
	v_add_f64 v[116:117], v[116:117], -v[64:65]
	v_fma_f64 v[108:109], v[104:105], -0.5, v[108:109]
	v_fma_f64 v[92:93], v[68:69], s[2:3], v[92:93]
	v_fma_f64 v[78:79], v[98:99], v[28:29], v[126:127]
	;; [unrolled: 1-line block ×4, first 2 shown]
	v_add_f64 v[122:123], v[62:63], v[106:107]
	v_add_f64 v[102:103], v[2:3], v[78:79]
	v_add_f64 v[2:3], v[2:3], -v[78:79]
	v_add_f64 v[78:79], v[72:73], v[96:97]
	v_add_f64 v[86:87], v[66:67], v[94:95]
	v_add_f64 v[66:67], v[66:67], -v[94:95]
	v_add_f64 v[88:89], v[74:75], v[98:99]
	v_add_f64 v[90:91], v[74:75], -v[98:99]
	v_fma_f64 v[110:111], v[102:103], s[26:27], v[62:63]
	v_mul_f64 v[94:95], v[2:3], s[16:17]
	s_mov_b32 s17, 0xbfe491b7
	v_fma_f64 v[112:113], v[78:79], s[26:27], v[60:61]
	v_mul_f64 v[136:137], v[76:77], s[16:17]
	v_fma_f64 v[114:115], v[88:89], s[26:27], v[62:63]
	v_mul_f64 v[138:139], v[90:91], s[16:17]
	v_add_f64 v[118:119], v[90:91], v[2:3]
	v_fma_f64 v[110:111], v[86:87], s[22:23], v[110:111]
	v_fma_f64 v[94:95], v[66:67], s[18:19], v[94:95]
	v_mul_f64 v[130:131], v[90:91], s[18:19]
	v_fma_f64 v[112:113], v[100:101], s[22:23], v[112:113]
	v_fma_f64 v[136:137], v[0:1], s[18:19], v[136:137]
	;; [unrolled: 1-line block ×5, first 2 shown]
	v_fma_f64 v[110:111], v[106:107], -0.5, v[110:111]
	v_fma_f64 v[94:95], v[70:71], s[2:3], v[94:95]
	v_add_f64 v[126:127], v[86:87], v[102:103]
	v_fma_f64 v[112:113], v[104:105], -0.5, v[112:113]
	v_fma_f64 v[136:137], v[68:69], s[24:25], v[136:137]
	v_fma_f64 v[114:115], v[106:107], -0.5, v[114:115]
	v_fma_f64 v[138:139], v[70:71], s[24:25], v[138:139]
	v_fma_f64 v[134:135], v[86:87], s[26:27], v[62:63]
	v_add_f64 v[118:119], v[118:119], -v[66:67]
	v_fma_f64 v[90:91], v[90:91], s[10:11], v[94:95]
	v_fma_f64 v[94:95], v[88:89], s[20:21], v[110:111]
	v_fma_f64 v[128:129], v[64:65], s[16:17], -v[128:129]
	v_fma_f64 v[92:93], v[78:79], s[20:21], v[108:109]
	v_fma_f64 v[108:109], v[66:67], s[16:17], -v[130:131]
	v_fma_f64 v[84:85], v[84:85], s[20:21], v[112:113]
	v_fma_f64 v[86:87], v[86:87], s[20:21], v[114:115]
	v_fma_f64 v[112:113], v[66:67], s[10:11], v[138:139]
	v_fma_f64 v[114:115], v[64:65], s[10:11], v[136:137]
	v_add_f64 v[66:67], v[94:95], -v[76:77]
	v_add_f64 v[140:141], v[78:79], v[124:125]
	v_add_f64 v[142:143], v[88:89], v[126:127]
	v_fma_f64 v[78:79], v[78:79], s[22:23], v[132:133]
	v_fma_f64 v[88:89], v[88:89], s[22:23], v[134:135]
	v_add_f64 v[110:111], v[104:105], v[124:125]
	v_add_f64 v[64:65], v[90:91], v[92:93]
	v_fma_f64 v[92:93], v[68:69], s[2:3], v[128:129]
	v_fma_f64 v[94:95], v[70:71], s[2:3], v[108:109]
	v_add_f64 v[70:71], v[86:87], -v[114:115]
	v_fma_f64 v[86:87], v[76:77], 2.0, v[66:67]
	v_add_f64 v[76:77], v[106:107], v[126:127]
	v_fma_f64 v[78:79], v[104:105], -0.5, v[78:79]
	v_fma_f64 v[88:89], v[106:107], -0.5, v[88:89]
	v_add_f64 v[68:69], v[112:113], v[84:85]
	v_fma_f64 v[0:1], v[0:1], s[10:11], v[92:93]
	v_add_f64 v[92:93], v[72:73], v[110:111]
	v_fma_f64 v[2:3], v[2:3], s[10:11], v[94:95]
	v_fma_f64 v[84:85], v[90:91], -2.0, v[64:65]
	v_add_f64 v[76:77], v[74:75], v[76:77]
	v_fma_f64 v[78:79], v[100:101], s[20:21], v[78:79]
	v_fma_f64 v[88:89], v[102:103], s[20:21], v[88:89]
	v_fma_f64 v[90:91], v[140:141], -0.5, v[120:121]
	v_fma_f64 v[104:105], v[142:143], -0.5, v[122:123]
	v_add_f64 v[96:97], v[96:97], v[92:93]
	v_mul_f64 v[94:95], v[116:117], s[2:3]
	v_mul_f64 v[100:101], v[118:119], s[2:3]
	v_add_f64 v[98:99], v[98:99], v[76:77]
	v_add_f64 v[76:77], v[2:3], v[78:79]
	v_add_f64 v[78:79], v[88:89], -v[0:1]
	v_fma_f64 v[72:73], v[118:119], s[2:3], v[90:91]
	v_fma_f64 v[74:75], v[116:117], s[24:25], v[104:105]
	v_add_f64 v[60:61], v[60:61], v[96:97]
	v_fma_f64 v[88:89], v[112:113], -2.0, v[68:69]
	v_fma_f64 v[90:91], v[114:115], 2.0, v[70:71]
	v_add_f64 v[62:63], v[62:63], v[98:99]
	v_fma_f64 v[96:97], v[2:3], -2.0, v[76:77]
	v_fma_f64 v[98:99], v[0:1], 2.0, v[78:79]
	v_fma_f64 v[92:93], v[100:101], -2.0, v[72:73]
	v_fma_f64 v[94:95], v[94:95], 2.0, v[74:75]
	v_mul_u32_u24_e32 v0, 0x99, v4
	v_add_lshl_u32 v247, v0, v5, 4
	ds_write_b128 v247, v[60:63]
	ds_write_b128 v247, v[64:67] offset:272
	ds_write_b128 v247, v[68:71] offset:544
	;; [unrolled: 1-line block ×8, first 2 shown]
	s_waitcnt lgkmcnt(0)
	s_barrier
	ds_read_b128 v[92:95], v180
	ds_read_b128 v[88:91], v180 offset:1632
	ds_read_b128 v[108:111], v180 offset:7344
	;; [unrolled: 1-line block ×7, first 2 shown]
	v_cmp_gt_u16_e64 s[2:3], 51, v185
	s_and_saveexec_b64 s[10:11], s[2:3]
	s_cbranch_execz .LBB0_9
; %bb.8:
	ds_read_b128 v[84:87], v180 offset:6528
	ds_read_b128 v[80:83], v180 offset:13872
.LBB0_9:
	s_or_b64 exec, exec, s[10:11]
	v_add_co_u32_e32 v120, vcc, 0x66, v185
	v_addc_co_u32_e64 v0, s[10:11], 0, 0, vcc
	s_movk_i32 s10, 0xffcd
	v_add_co_u32_e32 v2, vcc, s10, v185
	v_addc_co_u32_e64 v1, s[10:11], 0, -1, vcc
	v_add_u32_e32 v3, 0x132, v185
	v_cndmask_b32_e64 v1, v1, v0, s[2:3]
	v_cndmask_b32_e64 v0, v2, v120, s[2:3]
	s_movk_i32 s10, 0x358b
	v_lshlrev_b64 v[1:2], 4, v[0:1]
	v_mul_u32_u24_sdwa v6, v3, s10 dst_sel:DWORD dst_unused:UNUSED_PAD src0_sel:WORD_0 src1_sel:DWORD
	v_lshrrev_b32_e32 v6, 21, v6
	v_mov_b32_e32 v5, s9
	global_load_dwordx4 v[28:31], v180, s[8:9] offset:2176
	global_load_dwordx4 v[67:70], v180, s[8:9] offset:2992
	v_add_co_u32_e32 v1, vcc, s8, v1
	v_mul_lo_u16_e32 v6, 0x99, v6
	v_add_u32_e32 v4, 0x198, v185
	v_addc_co_u32_e32 v2, vcc, v5, v2, vcc
	v_sub_u16_e32 v3, v3, v6
	v_lshlrev_b32_e32 v65, 4, v3
	global_load_dwordx4 v[76:79], v[1:2], off offset:2176
	global_load_dwordx4 v[72:75], v65, s[8:9] offset:2176
	v_mul_u32_u24_sdwa v1, v4, s10 dst_sel:DWORD dst_unused:UNUSED_PAD src0_sel:WORD_0 src1_sel:DWORD
	v_lshrrev_b32_e32 v1, 21, v1
	v_mul_lo_u16_e32 v1, 0x99, v1
	v_sub_u16_e32 v1, v4, v1
	v_lshlrev_b32_e32 v248, 4, v1
	global_load_dwordx4 v[11:14], v248, s[8:9] offset:2176
	v_add_co_u32_e32 v121, vcc, s8, v180
	v_addc_co_u32_e32 v122, vcc, 0, v5, vcc
	v_mov_b32_e32 v1, 0x132
	v_cmp_lt_u16_e32 vcc, 50, v185
	v_cndmask_b32_e32 v1, 0, v1, vcc
	v_add_lshl_u32 v66, v0, v1, 4
	s_waitcnt vmcnt(0) lgkmcnt(0)
	s_barrier
	v_mul_f64 v[0:1], v[110:111], v[30:31]
	v_mul_f64 v[2:3], v[108:109], v[30:31]
	;; [unrolled: 1-line block ×4, first 2 shown]
	v_fma_f64 v[0:1], v[108:109], v[28:29], -v[0:1]
	v_mul_f64 v[123:124], v[106:107], v[78:79]
	buffer_store_dword v28, off, s[64:67], 0 offset:92 ; 4-byte Folded Spill
	s_nop 0
	buffer_store_dword v29, off, s[64:67], 0 offset:96 ; 4-byte Folded Spill
	buffer_store_dword v30, off, s[64:67], 0 offset:100 ; 4-byte Folded Spill
	;; [unrolled: 1-line block ×3, first 2 shown]
	v_mul_f64 v[125:126], v[104:105], v[78:79]
	v_mul_f64 v[127:128], v[114:115], v[74:75]
	;; [unrolled: 1-line block ×3, first 2 shown]
	v_fma_f64 v[60:61], v[116:117], v[67:68], -v[60:61]
	v_fma_f64 v[62:63], v[118:119], v[67:68], v[62:63]
	v_mul_f64 v[131:132], v[82:83], v[13:14]
	v_mul_f64 v[133:134], v[80:81], v[13:14]
	v_fma_f64 v[104:105], v[104:105], v[76:77], -v[123:124]
	v_fma_f64 v[106:107], v[106:107], v[76:77], v[125:126]
	v_fma_f64 v[116:117], v[112:113], v[72:73], -v[127:128]
	v_fma_f64 v[118:119], v[114:115], v[72:73], v[129:130]
	v_add_f64 v[108:109], v[96:97], -v[60:61]
	v_fma_f64 v[123:124], v[80:81], v[11:12], -v[131:132]
	buffer_store_dword v11, off, s[64:67], 0 offset:108 ; 4-byte Folded Spill
	s_nop 0
	buffer_store_dword v12, off, s[64:67], 0 offset:112 ; 4-byte Folded Spill
	buffer_store_dword v13, off, s[64:67], 0 offset:116 ; 4-byte Folded Spill
	;; [unrolled: 1-line block ×3, first 2 shown]
	v_add_f64 v[80:81], v[92:93], -v[0:1]
	v_add_f64 v[112:113], v[88:89], -v[104:105]
	;; [unrolled: 1-line block ×5, first 2 shown]
	v_fma_f64 v[96:97], v[96:97], 2.0, -v[108:109]
	v_add_f64 v[104:105], v[84:85], -v[123:124]
	v_fma_f64 v[92:93], v[92:93], 2.0, -v[80:81]
	v_fma_f64 v[88:89], v[88:89], 2.0, -v[112:113]
	;; [unrolled: 1-line block ×5, first 2 shown]
	v_fma_f64 v[2:3], v[110:111], v[28:29], v[2:3]
	v_add_f64 v[110:111], v[98:99], -v[62:63]
	v_fma_f64 v[98:99], v[98:99], 2.0, -v[110:111]
	v_fma_f64 v[125:126], v[82:83], v[11:12], v[133:134]
	v_add_f64 v[82:83], v[94:95], -v[2:3]
	v_add_f64 v[106:107], v[86:87], -v[125:126]
	v_fma_f64 v[94:95], v[94:95], 2.0, -v[82:83]
	ds_write_b128 v180, v[80:83] offset:2448
	ds_write_b128 v180, v[92:95]
	ds_write_b128 v66, v[112:115] offset:2448
	ds_write_b128 v66, v[88:91]
	ds_write_b128 v180, v[96:99] offset:5712
	ds_write_b128 v180, v[108:111] offset:8160
	ds_write_b128 v65, v[100:103] offset:9792
	ds_write_b128 v65, v[116:119] offset:12240
	s_mov_b64 s[10:11], exec
	buffer_load_dword v28, off, s[64:67], 0 offset:44 ; 4-byte Folded Reload
	buffer_load_dword v29, off, s[64:67], 0 offset:48 ; 4-byte Folded Reload
	;; [unrolled: 1-line block ×4, first 2 shown]
	s_and_b64 s[16:17], s[10:11], s[2:3]
	s_mov_b64 exec, s[16:17]
	s_cbranch_execz .LBB0_11
; %bb.10:
	v_fma_f64 v[82:83], v[86:87], 2.0, -v[106:107]
	v_fma_f64 v[80:81], v[84:85], 2.0, -v[104:105]
	ds_write_b128 v248, v[80:83] offset:9792
	ds_write_b128 v248, v[104:107] offset:12240
.LBB0_11:
	s_or_b64 exec, exec, s[10:11]
	v_add_co_u32_e32 v2, vcc, v121, v180
	v_addc_co_u32_e32 v3, vcc, 0, v122, vcc
	s_movk_i32 s10, 0x1210
	v_add_co_u32_e32 v0, vcc, s10, v2
	v_addc_co_u32_e32 v1, vcc, 0, v3, vcc
	s_movk_i32 s11, 0x1000
	v_add_co_u32_e32 v2, vcc, s11, v2
	v_addc_co_u32_e32 v3, vcc, 0, v3, vcc
	s_waitcnt vmcnt(0) lgkmcnt(0)
	s_barrier
	global_load_dwordx4 v[80:83], v[2:3], off offset:528
	global_load_dwordx4 v[84:87], v[0:1], off offset:16
	v_lshlrev_b32_e32 v0, 5, v120
	v_mov_b32_e32 v4, s9
	v_add_co_u32_e32 v2, vcc, s8, v0
	v_addc_co_u32_e32 v3, vcc, 0, v4, vcc
	v_add_co_u32_e32 v0, vcc, s10, v2
	v_addc_co_u32_e32 v1, vcc, 0, v3, vcc
	;; [unrolled: 2-line block ×3, first 2 shown]
	global_load_dwordx4 v[92:95], v[2:3], off offset:528
	global_load_dwordx4 v[88:91], v[0:1], off offset:16
	v_mov_b32_e32 v0, 0x1980
	v_lshl_add_u32 v0, v185, 5, v0
	v_add_co_u32_e32 v2, vcc, s8, v0
	v_addc_co_u32_e32 v3, vcc, 0, v4, vcc
	v_add_co_u32_e32 v0, vcc, s11, v2
	v_addc_co_u32_e32 v1, vcc, 0, v3, vcc
	global_load_dwordx4 v[100:103], v[0:1], off offset:528
	v_add_co_u32_e32 v0, vcc, s10, v2
	v_addc_co_u32_e32 v1, vcc, 0, v3, vcc
	global_load_dwordx4 v[96:99], v[0:1], off offset:16
	ds_read_b128 v[108:111], v180
	ds_read_b128 v[112:115], v180 offset:1632
	ds_read_b128 v[116:119], v180 offset:9792
	;; [unrolled: 1-line block ×8, first 2 shown]
	s_mov_b32 s8, 0xe8584caa
	s_mov_b32 s9, 0x3febb67a
	;; [unrolled: 1-line block ×4, first 2 shown]
	s_waitcnt vmcnt(5) lgkmcnt(4)
	v_mul_f64 v[0:1], v[126:127], v[82:83]
	v_mul_f64 v[2:3], v[124:125], v[82:83]
	s_waitcnt vmcnt(4)
	v_mul_f64 v[60:61], v[118:119], v[86:87]
	v_mul_f64 v[62:63], v[116:117], v[86:87]
	v_fma_f64 v[0:1], v[124:125], v[80:81], -v[0:1]
	v_fma_f64 v[2:3], v[126:127], v[80:81], v[2:3]
	v_fma_f64 v[60:61], v[116:117], v[84:85], -v[60:61]
	v_fma_f64 v[62:63], v[118:119], v[84:85], v[62:63]
	s_waitcnt vmcnt(3) lgkmcnt(2)
	v_mul_f64 v[128:129], v[136:137], v[94:95]
	s_waitcnt vmcnt(2)
	v_mul_f64 v[148:149], v[122:123], v[90:91]
	v_mul_f64 v[146:147], v[134:135], v[94:95]
	;; [unrolled: 1-line block ×3, first 2 shown]
	v_add_f64 v[124:125], v[0:1], v[60:61]
	v_fma_f64 v[116:117], v[134:135], v[92:93], -v[128:129]
	v_fma_f64 v[120:121], v[120:121], v[88:89], -v[148:149]
	v_fma_f64 v[118:119], v[136:137], v[92:93], v[146:147]
	v_fma_f64 v[126:127], v[122:123], v[88:89], v[150:151]
	s_waitcnt vmcnt(1) lgkmcnt(1)
	v_mul_f64 v[152:153], v[140:141], v[102:103]
	v_mul_f64 v[154:155], v[138:139], v[102:103]
	v_add_f64 v[122:123], v[108:109], v[0:1]
	v_add_f64 v[128:129], v[2:3], -v[62:63]
	v_add_f64 v[0:1], v[0:1], -v[60:61]
	s_waitcnt vmcnt(0) lgkmcnt(0)
	v_mul_f64 v[156:157], v[144:145], v[98:99]
	v_mul_f64 v[158:159], v[142:143], v[98:99]
	v_add_f64 v[146:147], v[116:117], v[120:121]
	v_fma_f64 v[134:135], v[138:139], v[100:101], -v[152:153]
	v_fma_f64 v[136:137], v[140:141], v[100:101], v[154:155]
	v_add_f64 v[140:141], v[110:111], v[2:3]
	v_add_f64 v[2:3], v[2:3], v[62:63]
	v_add_f64 v[148:149], v[118:119], -v[126:127]
	v_fma_f64 v[138:139], v[142:143], v[96:97], -v[156:157]
	v_fma_f64 v[142:143], v[144:145], v[96:97], v[158:159]
	v_add_f64 v[144:145], v[112:113], v[116:117]
	v_add_f64 v[150:151], v[114:115], v[118:119]
	;; [unrolled: 1-line block ×3, first 2 shown]
	v_fma_f64 v[124:125], v[124:125], -0.5, v[108:109]
	v_fma_f64 v[2:3], v[2:3], -0.5, v[110:111]
	v_add_f64 v[108:109], v[122:123], v[60:61]
	v_add_f64 v[156:157], v[134:135], v[138:139]
	;; [unrolled: 1-line block ×3, first 2 shown]
	v_fma_f64 v[60:61], v[146:147], -0.5, v[112:113]
	v_add_f64 v[152:153], v[116:117], -v[120:121]
	v_add_f64 v[154:155], v[130:131], v[134:135]
	v_add_f64 v[110:111], v[140:141], v[62:63]
	;; [unrolled: 1-line block ×3, first 2 shown]
	v_fma_f64 v[62:63], v[118:119], -0.5, v[114:115]
	v_fma_f64 v[112:113], v[128:129], s[8:9], v[124:125]
	v_fma_f64 v[120:121], v[128:129], s[10:11], v[124:125]
	;; [unrolled: 1-line block ×6, first 2 shown]
	v_fma_f64 v[0:1], v[156:157], -0.5, v[130:131]
	v_add_f64 v[2:3], v[136:137], -v[142:143]
	v_add_f64 v[60:61], v[132:133], v[136:137]
	v_fma_f64 v[144:145], v[158:159], -0.5, v[132:133]
	v_add_f64 v[146:147], v[134:135], -v[138:139]
	v_add_f64 v[118:119], v[150:151], v[126:127]
	v_fma_f64 v[126:127], v[152:153], s[10:11], v[62:63]
	v_fma_f64 v[130:131], v[152:153], s[8:9], v[62:63]
	v_add_f64 v[132:133], v[154:155], v[138:139]
	v_fma_f64 v[136:137], v[2:3], s[8:9], v[0:1]
	v_fma_f64 v[140:141], v[2:3], s[10:11], v[0:1]
	;; [unrolled: 3-line block ×3, first 2 shown]
	ds_write_b128 v180, v[108:111]
	ds_write_b128 v180, v[112:115] offset:4896
	ds_write_b128 v180, v[120:123] offset:9792
	;; [unrolled: 1-line block ×8, first 2 shown]
	s_waitcnt lgkmcnt(0)
	s_barrier
	s_and_saveexec_b64 s[8:9], s[0:1]
	s_cbranch_execz .LBB0_13
; %bb.12:
	v_add_co_u32_e32 v144, vcc, s12, v180
	v_mov_b32_e32 v0, s13
	v_addc_co_u32_e32 v145, vcc, 0, v0, vcc
	v_add_co_u32_e32 v0, vcc, 0x3960, v144
	v_addc_co_u32_e32 v1, vcc, 0, v145, vcc
	v_add_co_u32_e32 v2, vcc, 0x3000, v144
	v_addc_co_u32_e32 v3, vcc, 0, v145, vcc
	global_load_dwordx4 v[150:153], v[2:3], off offset:2400
	ds_read_b128 v[146:149], v180
	s_movk_i32 s10, 0x4000
	s_waitcnt vmcnt(0) lgkmcnt(0)
	v_mul_f64 v[2:3], v[148:149], v[152:153]
	v_fma_f64 v[154:155], v[146:147], v[150:151], -v[2:3]
	v_mul_f64 v[2:3], v[146:147], v[152:153]
	v_fma_f64 v[156:157], v[148:149], v[150:151], v[2:3]
	global_load_dwordx4 v[150:153], v[0:1], off offset:864
	ds_read_b128 v[146:149], v180 offset:864
	ds_write_b128 v180, v[154:157]
	s_waitcnt vmcnt(0) lgkmcnt(1)
	v_mul_f64 v[2:3], v[148:149], v[152:153]
	v_fma_f64 v[154:155], v[146:147], v[150:151], -v[2:3]
	v_mul_f64 v[2:3], v[146:147], v[152:153]
	v_fma_f64 v[156:157], v[148:149], v[150:151], v[2:3]
	global_load_dwordx4 v[150:153], v[0:1], off offset:1728
	ds_read_b128 v[146:149], v180 offset:1728
	ds_write_b128 v180, v[154:157] offset:864
	s_waitcnt vmcnt(0) lgkmcnt(1)
	v_mul_f64 v[2:3], v[148:149], v[152:153]
	v_fma_f64 v[154:155], v[146:147], v[150:151], -v[2:3]
	v_mul_f64 v[2:3], v[146:147], v[152:153]
	v_fma_f64 v[156:157], v[148:149], v[150:151], v[2:3]
	global_load_dwordx4 v[150:153], v[0:1], off offset:2592
	ds_read_b128 v[146:149], v180 offset:2592
	ds_write_b128 v180, v[154:157] offset:1728
	;; [unrolled: 8-line block ×3, first 2 shown]
	s_waitcnt vmcnt(0) lgkmcnt(1)
	v_mul_f64 v[0:1], v[148:149], v[152:153]
	v_fma_f64 v[154:155], v[146:147], v[150:151], -v[0:1]
	v_mul_f64 v[0:1], v[146:147], v[152:153]
	v_fma_f64 v[156:157], v[148:149], v[150:151], v[0:1]
	v_add_co_u32_e32 v0, vcc, s10, v144
	v_addc_co_u32_e32 v1, vcc, 0, v145, vcc
	global_load_dwordx4 v[150:153], v[0:1], off offset:2624
	ds_read_b128 v[146:149], v180 offset:4320
	s_movk_i32 s10, 0x5000
	ds_write_b128 v180, v[154:157] offset:3456
	s_waitcnt vmcnt(0) lgkmcnt(1)
	v_mul_f64 v[2:3], v[148:149], v[152:153]
	v_fma_f64 v[154:155], v[146:147], v[150:151], -v[2:3]
	v_mul_f64 v[2:3], v[146:147], v[152:153]
	v_fma_f64 v[156:157], v[148:149], v[150:151], v[2:3]
	global_load_dwordx4 v[150:153], v[0:1], off offset:3488
	ds_read_b128 v[146:149], v180 offset:5184
	ds_write_b128 v180, v[154:157] offset:4320
	s_waitcnt vmcnt(0) lgkmcnt(1)
	v_mul_f64 v[0:1], v[148:149], v[152:153]
	v_fma_f64 v[154:155], v[146:147], v[150:151], -v[0:1]
	v_mul_f64 v[0:1], v[146:147], v[152:153]
	v_fma_f64 v[156:157], v[148:149], v[150:151], v[0:1]
	v_add_co_u32_e32 v0, vcc, s10, v144
	v_addc_co_u32_e32 v1, vcc, 0, v145, vcc
	global_load_dwordx4 v[150:153], v[0:1], off offset:256
	ds_read_b128 v[146:149], v180 offset:6048
	s_movk_i32 s10, 0x6000
	ds_write_b128 v180, v[154:157] offset:5184
	s_waitcnt vmcnt(0) lgkmcnt(1)
	v_mul_f64 v[2:3], v[148:149], v[152:153]
	v_fma_f64 v[154:155], v[146:147], v[150:151], -v[2:3]
	v_mul_f64 v[2:3], v[146:147], v[152:153]
	v_fma_f64 v[156:157], v[148:149], v[150:151], v[2:3]
	global_load_dwordx4 v[150:153], v[0:1], off offset:1120
	ds_read_b128 v[146:149], v180 offset:6912
	ds_write_b128 v180, v[154:157] offset:6048
	s_waitcnt vmcnt(0) lgkmcnt(1)
	v_mul_f64 v[2:3], v[148:149], v[152:153]
	v_fma_f64 v[154:155], v[146:147], v[150:151], -v[2:3]
	v_mul_f64 v[2:3], v[146:147], v[152:153]
	v_fma_f64 v[156:157], v[148:149], v[150:151], v[2:3]
	global_load_dwordx4 v[150:153], v[0:1], off offset:1984
	ds_read_b128 v[146:149], v180 offset:7776
	;; [unrolled: 8-line block ×4, first 2 shown]
	ds_write_b128 v180, v[154:157] offset:8640
	s_waitcnt vmcnt(0) lgkmcnt(1)
	v_mul_f64 v[0:1], v[148:149], v[152:153]
	v_fma_f64 v[154:155], v[146:147], v[150:151], -v[0:1]
	v_mul_f64 v[0:1], v[146:147], v[152:153]
	v_fma_f64 v[156:157], v[148:149], v[150:151], v[0:1]
	v_add_co_u32_e32 v0, vcc, s10, v144
	v_addc_co_u32_e32 v1, vcc, 0, v145, vcc
	global_load_dwordx4 v[150:153], v[0:1], off offset:480
	ds_read_b128 v[146:149], v180 offset:10368
	ds_write_b128 v180, v[154:157] offset:9504
	s_waitcnt vmcnt(0) lgkmcnt(1)
	v_mul_f64 v[2:3], v[148:149], v[152:153]
	v_fma_f64 v[144:145], v[146:147], v[150:151], -v[2:3]
	v_mul_f64 v[2:3], v[146:147], v[152:153]
	v_fma_f64 v[146:147], v[148:149], v[150:151], v[2:3]
	global_load_dwordx4 v[148:151], v[0:1], off offset:1344
	ds_write_b128 v180, v[144:147] offset:10368
	ds_read_b128 v[144:147], v180 offset:11232
	s_waitcnt vmcnt(0) lgkmcnt(0)
	v_mul_f64 v[2:3], v[146:147], v[150:151]
	v_fma_f64 v[152:153], v[144:145], v[148:149], -v[2:3]
	v_mul_f64 v[2:3], v[144:145], v[150:151]
	v_fma_f64 v[154:155], v[146:147], v[148:149], v[2:3]
	global_load_dwordx4 v[148:151], v[0:1], off offset:2208
	ds_read_b128 v[144:147], v180 offset:12096
	ds_write_b128 v180, v[152:155] offset:11232
	s_waitcnt vmcnt(0) lgkmcnt(1)
	v_mul_f64 v[2:3], v[146:147], v[150:151]
	v_fma_f64 v[152:153], v[144:145], v[148:149], -v[2:3]
	v_mul_f64 v[2:3], v[144:145], v[150:151]
	v_fma_f64 v[154:155], v[146:147], v[148:149], v[2:3]
	global_load_dwordx4 v[148:151], v[0:1], off offset:3072
	ds_read_b128 v[144:147], v180 offset:12960
	ds_write_b128 v180, v[152:155] offset:12096
	;; [unrolled: 8-line block ×3, first 2 shown]
	s_waitcnt vmcnt(0) lgkmcnt(1)
	v_mul_f64 v[0:1], v[146:147], v[150:151]
	v_fma_f64 v[152:153], v[144:145], v[148:149], -v[0:1]
	v_mul_f64 v[0:1], v[144:145], v[150:151]
	v_fma_f64 v[154:155], v[146:147], v[148:149], v[0:1]
	ds_write_b128 v180, v[152:155] offset:13824
.LBB0_13:
	s_or_b64 exec, exec, s[8:9]
	s_waitcnt lgkmcnt(0)
	s_barrier
	s_and_saveexec_b64 s[8:9], s[0:1]
	s_cbranch_execz .LBB0_15
; %bb.14:
	ds_read_b128 v[108:111], v180
	ds_read_b128 v[112:115], v180 offset:864
	ds_read_b128 v[120:123], v180 offset:1728
	;; [unrolled: 1-line block ×15, first 2 shown]
	s_waitcnt lgkmcnt(0)
	buffer_store_dword v0, off, s[64:67], 0 offset:20 ; 4-byte Folded Spill
	s_nop 0
	buffer_store_dword v1, off, s[64:67], 0 offset:24 ; 4-byte Folded Spill
	buffer_store_dword v2, off, s[64:67], 0 offset:28 ; 4-byte Folded Spill
	buffer_store_dword v3, off, s[64:67], 0 offset:32 ; 4-byte Folded Spill
	ds_read_b128 v[0:3], v180 offset:13824
	s_waitcnt lgkmcnt(0)
	buffer_store_dword v0, off, s[64:67], 0 offset:4 ; 4-byte Folded Spill
	s_nop 0
	buffer_store_dword v1, off, s[64:67], 0 offset:8 ; 4-byte Folded Spill
	buffer_store_dword v2, off, s[64:67], 0 offset:12 ; 4-byte Folded Spill
	;; [unrolled: 1-line block ×3, first 2 shown]
.LBB0_15:
	s_or_b64 exec, exec, s[8:9]
	buffer_load_dword v0, off, s[64:67], 0 offset:4 ; 4-byte Folded Reload
	buffer_load_dword v1, off, s[64:67], 0 offset:8 ; 4-byte Folded Reload
	;; [unrolled: 1-line block ×8, first 2 shown]
	s_mov_b32 s10, 0xacd6c6b4
	s_mov_b32 s11, 0xbfc7851a
	;; [unrolled: 1-line block ×8, first 2 shown]
	v_add_f64 v[34:35], v[118:119], -v[17:18]
	s_mov_b32 s20, 0x4363dd80
	s_mov_b32 s21, 0xbfe0d888
	v_add_f64 v[193:194], v[116:117], v[15:16]
	v_add_f64 v[195:196], v[118:119], v[17:18]
	s_mov_b32 s18, 0x910ea3b9
	s_mov_b32 s19, 0xbfeb34fa
	v_add_f64 v[205:206], v[116:117], -v[15:16]
	v_mul_f64 v[156:157], v[34:35], s[20:21]
	v_add_f64 v[221:222], v[126:127], -v[21:22]
	s_mov_b32 s48, 0x2a9d6da3
	s_mov_b32 s49, 0x3fe58eea
	v_mul_f64 v[158:159], v[195:196], s[18:19]
	v_add_f64 v[201:202], v[124:125], v[19:20]
	v_add_f64 v[203:204], v[126:127], v[21:22]
	s_mov_b32 s22, 0x75d4884
	s_mov_b32 s23, 0x3fe7a5f6
	v_mul_f64 v[160:161], v[221:222], s[48:49]
	v_add_f64 v[215:216], v[124:125], -v[19:20]
	v_add_f64 v[199:200], v[130:131], -v[26:27]
	s_mov_b32 s26, 0x6c9a05f6
	s_mov_b32 s27, 0xbfe9895b
	v_mul_f64 v[162:163], v[203:204], s[22:23]
	v_add_f64 v[207:208], v[128:129], v[24:25]
	v_add_f64 v[211:212], v[130:131], v[26:27]
	s_mov_b32 s24, 0x6ed5f1bb
	s_mov_b32 s25, 0xbfe348c8
	v_mul_f64 v[164:165], v[199:200], s[26:27]
	v_add_f64 v[223:224], v[128:129], -v[24:25]
	;; [unrolled: 10-line block ×5, first 2 shown]
	s_waitcnt vmcnt(0)
	s_barrier
	v_mul_f64 v[178:179], v[235:236], s[40:41]
	v_add_f64 v[32:33], v[114:115], -v[2:3]
	v_add_f64 v[181:182], v[112:113], v[0:1]
	v_add_f64 v[183:184], v[114:115], v[2:3]
	;; [unrolled: 1-line block ×4, first 2 shown]
	v_add_f64 v[213:214], v[120:121], -v[11:12]
	v_add_f64 v[12:13], v[122:123], -v[13:14]
	;; [unrolled: 1-line block ×3, first 2 shown]
	v_mul_f64 v[148:149], v[32:33], s[10:11]
	v_mul_f64 v[150:151], v[183:184], s[8:9]
	;; [unrolled: 1-line block ×4, first 2 shown]
	v_fma_f64 v[0:1], v[181:182], s[8:9], -v[148:149]
	v_fma_f64 v[2:3], v[4:5], s[10:11], v[150:151]
	v_fma_f64 v[60:61], v[187:188], s[16:17], -v[152:153]
	v_add_f64 v[0:1], v[108:109], v[0:1]
	v_add_f64 v[2:3], v[110:111], v[2:3]
	;; [unrolled: 1-line block ×3, first 2 shown]
	v_fma_f64 v[60:61], v[213:214], s[36:37], v[154:155]
	v_add_f64 v[2:3], v[60:61], v[2:3]
	v_fma_f64 v[60:61], v[193:194], s[18:19], -v[156:157]
	v_add_f64 v[0:1], v[60:61], v[0:1]
	v_fma_f64 v[60:61], v[205:206], s[20:21], v[158:159]
	v_add_f64 v[2:3], v[60:61], v[2:3]
	v_fma_f64 v[60:61], v[201:202], s[22:23], -v[160:161]
	v_add_f64 v[0:1], v[60:61], v[0:1]
	;; [unrolled: 4-line block ×6, first 2 shown]
	v_fma_f64 v[0:1], v[241:242], s[58:59], v[178:179]
	v_add_f64 v[146:147], v[0:1], v[2:3]
	s_and_saveexec_b64 s[28:29], s[0:1]
	s_cbranch_execz .LBB0_17
; %bb.16:
	v_mul_f64 v[0:1], v[4:5], s[10:11]
	v_mul_f64 v[2:3], v[181:182], s[8:9]
	;; [unrolled: 1-line block ×4, first 2 shown]
	buffer_store_dword v249, off, s[64:67], 0 offset:44 ; 4-byte Folded Spill
	s_nop 0
	buffer_store_dword v250, off, s[64:67], 0 offset:48 ; 4-byte Folded Spill
	buffer_store_dword v251, off, s[64:67], 0 offset:52 ; 4-byte Folded Spill
	;; [unrolled: 1-line block ×4, first 2 shown]
	s_nop 0
	buffer_store_dword v8, off, s[64:67], 0 offset:128 ; 4-byte Folded Spill
	buffer_store_dword v9, off, s[64:67], 0 offset:132 ; 4-byte Folded Spill
	;; [unrolled: 1-line block ×3, first 2 shown]
	v_mul_f64 v[249:250], v[193:194], s[18:19]
	v_mul_f64 v[251:252], v[205:206], s[20:21]
	v_add_f64 v[0:1], v[150:151], -v[0:1]
	v_add_f64 v[2:3], v[2:3], v[148:149]
	v_add_f64 v[60:61], v[60:61], v[152:153]
	v_add_f64 v[6:7], v[154:155], -v[62:63]
	v_mul_f64 v[253:254], v[201:202], s[22:23]
	v_mul_f64 v[148:149], v[215:216], s[48:49]
	v_add_f64 v[156:157], v[249:250], v[156:157]
	v_add_f64 v[10:11], v[158:159], -v[251:252]
	v_add_f64 v[0:1], v[110:111], v[0:1]
	v_add_f64 v[2:3], v[108:109], v[2:3]
	v_mul_f64 v[150:151], v[207:208], s[24:25]
	v_mul_f64 v[245:246], v[223:224], s[26:27]
	v_add_f64 v[160:161], v[253:254], v[160:161]
	v_add_f64 v[148:149], v[162:163], -v[148:149]
	v_mov_b32_e32 v186, v5
	v_mov_b32_e32 v185, v4
	v_add_f64 v[0:1], v[6:7], v[0:1]
	v_add_f64 v[2:3], v[60:61], v[2:3]
	v_mul_f64 v[4:5], v[217:218], s[30:31]
	v_mul_f64 v[62:63], v[231:232], s[44:45]
	v_add_f64 v[150:151], v[150:151], v[164:165]
	v_mul_f64 v[152:153], v[225:226], s[34:35]
	v_mul_f64 v[154:155], v[237:238], s[38:39]
	s_mov_b32 s47, 0xbfefdd0d
	v_add_f64 v[0:1], v[10:11], v[0:1]
	v_add_f64 v[2:3], v[156:157], v[2:3]
	v_add_f64 v[10:11], v[166:167], -v[245:246]
	v_mul_f64 v[156:157], v[185:186], s[20:21]
	v_add_f64 v[62:63], v[170:171], -v[62:63]
	v_add_f64 v[4:5], v[4:5], v[168:169]
	v_add_f64 v[154:155], v[174:175], -v[154:155]
	v_add_f64 v[152:153], v[152:153], v[172:173]
	v_add_f64 v[0:1], v[148:149], v[0:1]
	;; [unrolled: 1-line block ×3, first 2 shown]
	v_mul_f64 v[148:149], v[213:214], s[44:45]
	v_mul_f64 v[160:161], v[12:13], s[44:45]
	v_fma_f64 v[164:165], v[183:184], s[18:19], v[156:157]
	s_mov_b32 s46, s58
	v_mul_f64 v[8:9], v[233:234], s[40:41]
	v_mul_f64 v[6:7], v[241:242], s[58:59]
	v_add_f64 v[0:1], v[10:11], v[0:1]
	v_add_f64 v[2:3], v[150:151], v[2:3]
	v_mul_f64 v[10:11], v[32:33], s[20:21]
	v_mul_f64 v[170:171], v[34:35], s[46:47]
	v_add_f64 v[164:165], v[110:111], v[164:165]
	v_fma_f64 v[172:173], v[187:188], s[30:31], -v[160:161]
	s_mov_b32 s57, 0x3fe9895b
	s_mov_b32 s56, s26
	v_add_f64 v[0:1], v[62:63], v[0:1]
	v_add_f64 v[2:3], v[4:5], v[2:3]
	v_fma_f64 v[166:167], v[181:182], s[18:19], -v[10:11]
	v_mul_f64 v[162:163], v[215:216], s[56:57]
	v_add_f64 v[6:7], v[178:179], -v[6:7]
	v_add_f64 v[4:5], v[8:9], v[176:177]
	v_fma_f64 v[156:157], v[183:184], s[18:19], -v[156:157]
	v_fma_f64 v[10:11], v[181:182], s[18:19], v[10:11]
	v_add_f64 v[0:1], v[154:155], v[0:1]
	v_add_f64 v[2:3], v[152:153], v[2:3]
	v_mul_f64 v[152:153], v[205:206], s[46:47]
	v_fma_f64 v[154:155], v[189:190], s[30:31], v[148:149]
	v_add_f64 v[166:167], v[108:109], v[166:167]
	v_fma_f64 v[178:179], v[193:194], s[40:41], -v[170:171]
	s_mov_b32 s43, 0xbfd71e95
	s_mov_b32 s42, s36
	v_mul_f64 v[150:151], v[223:224], s[42:43]
	v_fma_f64 v[174:175], v[203:204], s[24:25], v[162:163]
	v_fma_f64 v[176:177], v[195:196], s[40:41], v[152:153]
	v_add_f64 v[154:155], v[154:155], v[164:165]
	v_mul_f64 v[164:165], v[221:222], s[56:57]
	v_add_f64 v[166:167], v[172:173], v[166:167]
	v_fma_f64 v[148:149], v[189:190], s[30:31], -v[148:149]
	v_add_f64 v[156:157], v[110:111], v[156:157]
	v_fma_f64 v[160:161], v[187:188], s[30:31], v[160:161]
	v_add_f64 v[10:11], v[108:109], v[10:11]
	v_mul_f64 v[172:173], v[199:200], s[42:43]
	v_add_f64 v[154:155], v[176:177], v[154:155]
	v_fma_f64 v[176:177], v[201:202], s[24:25], -v[164:165]
	v_add_f64 v[166:167], v[178:179], v[166:167]
	v_mul_f64 v[249:250], v[231:232], s[10:11]
	v_fma_f64 v[168:169], v[211:212], s[16:17], v[150:151]
	v_fma_f64 v[152:153], v[195:196], s[40:41], -v[152:153]
	v_add_f64 v[148:149], v[148:149], v[156:157]
	v_fma_f64 v[156:157], v[193:194], s[40:41], v[170:171]
	v_add_f64 v[10:11], v[160:161], v[10:11]
	v_add_f64 v[154:155], v[174:175], v[154:155]
	v_mul_f64 v[160:161], v[229:230], s[10:11]
	v_fma_f64 v[170:171], v[207:208], s[16:17], -v[172:173]
	v_add_f64 v[166:167], v[176:177], v[166:167]
	v_mul_f64 v[158:159], v[237:238], s[48:49]
	v_fma_f64 v[62:63], v[219:220], s[8:9], v[249:250]
	v_fma_f64 v[162:163], v[203:204], s[24:25], -v[162:163]
	v_add_f64 v[148:149], v[152:153], v[148:149]
	v_fma_f64 v[152:153], v[201:202], s[24:25], v[164:165]
	v_add_f64 v[10:11], v[156:157], v[10:11]
	v_add_f64 v[154:155], v[168:169], v[154:155]
	v_mul_f64 v[156:157], v[239:240], s[48:49]
	;; [unrolled: 10-line block ×3, first 2 shown]
	v_fma_f64 v[152:153], v[225:226], s[22:23], -v[156:157]
	v_add_f64 v[154:155], v[164:165], v[166:167]
	v_fma_f64 v[164:165], v[219:220], s[8:9], -v[249:250]
	v_add_f64 v[148:149], v[150:151], v[148:149]
	v_fma_f64 v[150:151], v[217:218], s[8:9], v[160:161]
	v_add_f64 v[10:11], v[162:163], v[10:11]
	v_fma_f64 v[160:161], v[235:236], s[34:35], v[60:61]
	v_add_f64 v[8:9], v[8:9], v[62:63]
	v_fma_f64 v[62:63], v[233:234], s[34:35], -v[168:169]
	v_add_f64 v[162:163], v[152:153], v[154:155]
	v_add_f64 v[6:7], v[6:7], v[0:1]
	;; [unrolled: 1-line block ×3, first 2 shown]
	v_fma_f64 v[158:159], v[227:228], s[22:23], -v[158:159]
	v_add_f64 v[164:165], v[164:165], v[148:149]
	buffer_store_dword v4, off, s[64:67], 0 offset:156 ; 4-byte Folded Spill
	s_nop 0
	buffer_store_dword v5, off, s[64:67], 0 offset:160 ; 4-byte Folded Spill
	buffer_store_dword v6, off, s[64:67], 0 offset:164 ; 4-byte Folded Spill
	;; [unrolled: 1-line block ×3, first 2 shown]
	v_add_f64 v[2:3], v[160:161], v[8:9]
	v_add_f64 v[0:1], v[62:63], v[162:163]
	buffer_store_dword v0, off, s[64:67], 0 offset:140 ; 4-byte Folded Spill
	s_nop 0
	buffer_store_dword v1, off, s[64:67], 0 offset:144 ; 4-byte Folded Spill
	buffer_store_dword v2, off, s[64:67], 0 offset:148 ; 4-byte Folded Spill
	;; [unrolled: 1-line block ×3, first 2 shown]
	v_fma_f64 v[0:1], v[235:236], s[34:35], -v[60:61]
	v_add_f64 v[2:3], v[158:159], v[164:165]
	v_mul_f64 v[60:61], v[185:186], s[26:27]
	v_mul_f64 v[158:159], v[32:33], s[26:27]
	s_mov_b32 s55, 0x3feec746
	s_mov_b32 s54, s38
	v_fma_f64 v[4:5], v[233:234], s[34:35], v[168:169]
	v_mul_f64 v[160:161], v[213:214], s[54:55]
	v_mul_f64 v[168:169], v[12:13], s[54:55]
	;; [unrolled: 1-line block ×3, first 2 shown]
	v_fma_f64 v[164:165], v[183:184], s[24:25], v[60:61]
	v_fma_f64 v[170:171], v[181:182], s[24:25], -v[158:159]
	v_fma_f64 v[60:61], v[183:184], s[24:25], -v[60:61]
	v_mul_f64 v[178:179], v[34:35], s[42:43]
	v_fma_f64 v[156:157], v[225:226], s[22:23], v[156:157]
	v_fma_f64 v[176:177], v[189:190], s[34:35], v[160:161]
	v_fma_f64 v[245:246], v[187:188], s[34:35], -v[168:169]
	v_add_f64 v[10:11], v[150:151], v[10:11]
	v_add_f64 v[164:165], v[110:111], v[164:165]
	;; [unrolled: 1-line block ×3, first 2 shown]
	v_mul_f64 v[249:250], v[215:216], s[20:21]
	v_fma_f64 v[251:252], v[195:196], s[16:17], v[174:175]
	v_fma_f64 v[160:161], v[189:190], s[34:35], -v[160:161]
	v_add_f64 v[60:61], v[110:111], v[60:61]
	v_fma_f64 v[253:254], v[193:194], s[16:17], -v[178:179]
	v_add_f64 v[6:7], v[156:157], v[10:11]
	v_add_f64 v[164:165], v[176:177], v[164:165]
	v_mul_f64 v[176:177], v[221:222], s[20:21]
	v_add_f64 v[170:171], v[245:246], v[170:171]
	v_mul_f64 v[156:157], v[223:224], s[58:59]
	v_fma_f64 v[245:246], v[203:204], s[18:19], v[249:250]
	v_fma_f64 v[174:175], v[195:196], s[16:17], -v[174:175]
	v_fma_f64 v[158:159], v[181:182], s[24:25], v[158:159]
	v_add_f64 v[60:61], v[160:161], v[60:61]
	v_add_f64 v[160:161], v[251:252], v[164:165]
	v_mul_f64 v[164:165], v[199:200], s[58:59]
	v_fma_f64 v[251:252], v[201:202], s[18:19], -v[176:177]
	v_add_f64 v[170:171], v[253:254], v[170:171]
	s_mov_b32 s51, 0xbfe58eea
	s_mov_b32 s50, s48
	v_mul_f64 v[62:63], v[231:232], s[50:51]
	v_fma_f64 v[172:173], v[211:212], s[40:41], v[156:157]
	v_fma_f64 v[249:250], v[203:204], s[18:19], -v[249:250]
	v_fma_f64 v[168:169], v[187:188], s[34:35], v[168:169]
	v_add_f64 v[158:159], v[108:109], v[158:159]
	v_add_f64 v[60:61], v[174:175], v[60:61]
	v_add_f64 v[160:161], v[245:246], v[160:161]
	v_mul_f64 v[174:175], v[229:230], s[50:51]
	v_fma_f64 v[245:246], v[207:208], s[40:41], -v[164:165]
	v_add_f64 v[170:171], v[251:252], v[170:171]
	v_mul_f64 v[10:11], v[237:238], s[10:11]
	v_fma_f64 v[166:167], v[219:220], s[22:23], v[62:63]
	v_fma_f64 v[156:157], v[211:212], s[40:41], -v[156:157]
	v_fma_f64 v[178:179], v[193:194], s[16:17], v[178:179]
	v_add_f64 v[158:159], v[168:169], v[158:159]
	v_add_f64 v[60:61], v[249:250], v[60:61]
	;; [unrolled: 1-line block ×3, first 2 shown]
	v_mul_f64 v[168:169], v[239:240], s[10:11]
	v_fma_f64 v[172:173], v[217:218], s[22:23], -v[174:175]
	v_add_f64 v[170:171], v[245:246], v[170:171]
	v_mul_f64 v[8:9], v[241:242], s[44:45]
	v_fma_f64 v[162:163], v[227:228], s[8:9], v[10:11]
	v_fma_f64 v[62:63], v[219:220], s[22:23], -v[62:63]
	v_add_f64 v[158:159], v[178:179], v[158:159]
	v_add_f64 v[60:61], v[156:157], v[60:61]
	;; [unrolled: 1-line block ×3, first 2 shown]
	v_mul_f64 v[178:179], v[243:244], s[44:45]
	v_fma_f64 v[160:161], v[225:226], s[8:9], -v[168:169]
	v_add_f64 v[166:167], v[172:173], v[170:171]
	v_add_f64 v[2:3], v[0:1], v[2:3]
	;; [unrolled: 1-line block ×3, first 2 shown]
	buffer_store_dword v0, off, s[64:67], 0 offset:204 ; 4-byte Folded Spill
	s_nop 0
	buffer_store_dword v1, off, s[64:67], 0 offset:208 ; 4-byte Folded Spill
	buffer_store_dword v2, off, s[64:67], 0 offset:212 ; 4-byte Folded Spill
	;; [unrolled: 1-line block ×3, first 2 shown]
	v_add_f64 v[60:61], v[62:63], v[60:61]
	v_fma_f64 v[62:63], v[235:236], s[30:31], v[8:9]
	v_add_f64 v[156:157], v[162:163], v[156:157]
	v_fma_f64 v[170:171], v[233:234], s[30:31], -v[178:179]
	v_add_f64 v[166:167], v[160:161], v[166:167]
	v_fma_f64 v[176:177], v[201:202], s[18:19], v[176:177]
	v_fma_f64 v[10:11], v[227:228], s[8:9], -v[10:11]
	v_fma_f64 v[164:165], v[207:208], s[40:41], v[164:165]
	v_fma_f64 v[8:9], v[235:236], s[30:31], -v[8:9]
	s_mov_b32 s61, 0x3fe0d888
	v_add_f64 v[2:3], v[62:63], v[156:157]
	s_mov_b32 s60, s20
	v_add_f64 v[0:1], v[170:171], v[166:167]
	buffer_store_dword v0, off, s[64:67], 0 offset:188 ; 4-byte Folded Spill
	s_nop 0
	buffer_store_dword v1, off, s[64:67], 0 offset:192 ; 4-byte Folded Spill
	buffer_store_dword v2, off, s[64:67], 0 offset:196 ; 4-byte Folded Spill
	;; [unrolled: 1-line block ×3, first 2 shown]
	v_add_f64 v[158:159], v[176:177], v[158:159]
	v_add_f64 v[10:11], v[10:11], v[60:61]
	v_mul_f64 v[2:3], v[185:186], s[38:39]
	v_fma_f64 v[172:173], v[217:218], s[22:23], v[174:175]
	v_mul_f64 v[6:7], v[213:214], s[60:61]
	v_fma_f64 v[0:1], v[225:226], s[8:9], v[168:169]
	v_mul_f64 v[170:171], v[12:13], s[60:61]
	s_mov_b32 s53, 0xbfeca52d
	v_add_f64 v[164:165], v[164:165], v[158:159]
	v_add_f64 v[156:157], v[8:9], v[10:11]
	v_mul_f64 v[10:11], v[32:33], s[38:39]
	v_fma_f64 v[60:61], v[183:184], s[34:35], v[2:3]
	v_fma_f64 v[168:169], v[189:190], s[18:19], v[6:7]
	s_mov_b32 s52, s44
	v_fma_f64 v[8:9], v[233:234], s[30:31], v[178:179]
	v_mul_f64 v[174:175], v[215:216], s[52:53]
	v_add_f64 v[4:5], v[172:173], v[164:165]
	v_mul_f64 v[164:165], v[205:206], s[48:49]
	v_fma_f64 v[172:173], v[181:182], s[34:35], -v[10:11]
	v_add_f64 v[60:61], v[110:111], v[60:61]
	v_mul_f64 v[178:179], v[34:35], s[48:49]
	v_fma_f64 v[245:246], v[187:188], s[18:19], -v[170:171]
	v_fma_f64 v[2:3], v[183:184], s[34:35], -v[2:3]
	v_mov_b32_e32 v153, v13
	v_mov_b32_e32 v151, v18
	v_fma_f64 v[176:177], v[195:196], s[22:23], v[164:165]
	v_add_f64 v[172:173], v[108:109], v[172:173]
	v_add_f64 v[60:61], v[168:169], v[60:61]
	v_mul_f64 v[249:250], v[223:224], s[10:11]
	v_fma_f64 v[251:252], v[203:204], s[30:31], v[174:175]
	v_mul_f64 v[253:254], v[221:222], s[52:53]
	v_mov_b32_e32 v152, v12
	v_fma_f64 v[12:13], v[193:194], s[22:23], -v[178:179]
	v_mov_b32_e32 v150, v17
	v_mov_b32_e32 v149, v16
	;; [unrolled: 1-line block ×3, first 2 shown]
	v_add_f64 v[14:15], v[245:246], v[172:173]
	v_add_f64 v[60:61], v[176:177], v[60:61]
	v_fma_f64 v[6:7], v[189:190], s[18:19], -v[6:7]
	v_add_f64 v[2:3], v[110:111], v[2:3]
	v_mul_f64 v[172:173], v[231:232], s[58:59]
	v_fma_f64 v[176:177], v[211:212], s[8:9], v[249:250]
	v_mul_f64 v[245:246], v[199:200], s[10:11]
	v_fma_f64 v[16:17], v[201:202], s[30:31], -v[253:254]
	v_add_f64 v[12:13], v[12:13], v[14:15]
	v_add_f64 v[14:15], v[251:252], v[60:61]
	v_fma_f64 v[164:165], v[195:196], s[22:23], -v[164:165]
	v_add_f64 v[2:3], v[6:7], v[2:3]
	v_mov_b32_e32 v161, v47
	v_mov_b32_e32 v160, v46
	;; [unrolled: 1-line block ×5, first 2 shown]
	v_mul_f64 v[62:63], v[237:238], s[42:43]
	v_mov_b32_e32 v46, v21
	v_mov_b32_e32 v45, v20
	;; [unrolled: 1-line block ×3, first 2 shown]
	v_fma_f64 v[18:19], v[219:220], s[40:41], v[172:173]
	v_mul_f64 v[60:61], v[229:230], s[58:59]
	v_fma_f64 v[251:252], v[207:208], s[8:9], -v[245:246]
	v_fma_f64 v[10:11], v[181:182], s[34:35], v[10:11]
	v_add_f64 v[6:7], v[16:17], v[12:13]
	v_add_f64 v[12:13], v[176:177], v[14:15]
	v_fma_f64 v[174:175], v[203:204], s[30:31], -v[174:175]
	v_add_f64 v[2:3], v[164:165], v[2:3]
	v_add_f64 v[0:1], v[0:1], v[4:5]
	v_mul_f64 v[4:5], v[241:242], s[26:27]
	v_fma_f64 v[168:169], v[227:228], s[16:17], v[62:63]
	v_mul_f64 v[14:15], v[239:240], s[42:43]
	v_fma_f64 v[16:17], v[217:218], s[40:41], -v[60:61]
	v_fma_f64 v[170:171], v[187:188], s[18:19], v[170:171]
	v_add_f64 v[10:11], v[108:109], v[10:11]
	v_add_f64 v[6:7], v[251:252], v[6:7]
	;; [unrolled: 1-line block ×3, first 2 shown]
	v_fma_f64 v[176:177], v[211:212], s[8:9], -v[249:250]
	v_add_f64 v[2:3], v[174:175], v[2:3]
	v_mul_f64 v[18:19], v[243:244], s[26:27]
	v_fma_f64 v[164:165], v[225:226], s[16:17], -v[14:15]
	v_fma_f64 v[178:179], v[193:194], s[22:23], v[178:179]
	v_add_f64 v[10:11], v[170:171], v[10:11]
	v_add_f64 v[6:7], v[16:17], v[6:7]
	v_fma_f64 v[16:17], v[235:236], s[24:25], v[4:5]
	v_add_f64 v[12:13], v[168:169], v[12:13]
	v_fma_f64 v[172:173], v[219:220], s[40:41], -v[172:173]
	v_add_f64 v[2:3], v[176:177], v[2:3]
	v_fma_f64 v[168:169], v[233:234], s[24:25], -v[18:19]
	v_fma_f64 v[174:175], v[201:202], s[30:31], v[253:254]
	v_add_f64 v[10:11], v[178:179], v[10:11]
	v_add_f64 v[6:7], v[164:165], v[6:7]
	;; [unrolled: 1-line block ×4, first 2 shown]
	v_fma_f64 v[0:1], v[227:228], s[16:17], -v[62:63]
	v_mul_f64 v[12:13], v[185:186], s[46:47]
	v_add_f64 v[2:3], v[172:173], v[2:3]
	v_mul_f64 v[16:17], v[32:33], s[46:47]
	v_fma_f64 v[8:9], v[207:208], s[8:9], v[245:246]
	v_add_f64 v[10:11], v[174:175], v[10:11]
	v_add_f64 v[168:169], v[168:169], v[6:7]
	v_fma_f64 v[6:7], v[217:218], s[40:41], v[60:61]
	v_mul_f64 v[60:61], v[213:214], s[10:11]
	v_fma_f64 v[62:63], v[183:184], s[40:41], v[12:13]
	v_add_f64 v[0:1], v[0:1], v[2:3]
	v_fma_f64 v[2:3], v[225:226], s[16:17], v[14:15]
	v_mul_f64 v[14:15], v[152:153], s[10:11]
	v_fma_f64 v[172:173], v[181:182], s[40:41], -v[16:17]
	v_add_f64 v[8:9], v[8:9], v[10:11]
	v_mul_f64 v[10:11], v[205:206], s[54:55]
	v_fma_f64 v[174:175], v[189:190], s[8:9], v[60:61]
	v_add_f64 v[62:63], v[110:111], v[62:63]
	v_mul_f64 v[176:177], v[34:35], s[54:55]
	v_fma_f64 v[12:13], v[183:184], s[40:41], -v[12:13]
	v_fma_f64 v[178:179], v[187:188], s[8:9], -v[14:15]
	v_add_f64 v[172:173], v[108:109], v[172:173]
	v_add_f64 v[6:7], v[6:7], v[8:9]
	v_fma_f64 v[8:9], v[233:234], s[24:25], v[18:19]
	v_mul_f64 v[18:19], v[215:216], s[36:37]
	v_fma_f64 v[245:246], v[195:196], s[34:35], v[10:11]
	v_add_f64 v[62:63], v[174:175], v[62:63]
	v_mul_f64 v[249:250], v[221:222], s[36:37]
	v_fma_f64 v[174:175], v[193:194], s[34:35], -v[176:177]
	v_add_f64 v[172:173], v[178:179], v[172:173]
	v_fma_f64 v[60:61], v[189:190], s[8:9], -v[60:61]
	v_add_f64 v[12:13], v[110:111], v[12:13]
	v_add_f64 v[2:3], v[2:3], v[6:7]
	v_mul_f64 v[6:7], v[223:224], s[52:53]
	v_fma_f64 v[178:179], v[203:204], s[16:17], v[18:19]
	v_add_f64 v[62:63], v[245:246], v[62:63]
	v_mul_f64 v[251:252], v[199:200], s[52:53]
	v_fma_f64 v[253:254], v[201:202], s[16:17], -v[249:250]
	v_add_f64 v[172:173], v[174:175], v[172:173]
	v_fma_f64 v[10:11], v[195:196], s[34:35], -v[10:11]
	v_add_f64 v[12:13], v[60:61], v[12:13]
	v_mul_f64 v[245:246], v[231:232], s[20:21]
	v_fma_f64 v[174:175], v[211:212], s[30:31], v[6:7]
	v_add_f64 v[62:63], v[178:179], v[62:63]
	v_mov_b32_e32 v255, v23
	v_mul_f64 v[22:23], v[229:230], s[20:21]
	v_fma_f64 v[60:61], v[207:208], s[30:31], -v[251:252]
	v_add_f64 v[172:173], v[253:254], v[172:173]
	v_fma_f64 v[18:19], v[203:204], s[16:17], -v[18:19]
	v_add_f64 v[10:11], v[10:11], v[12:13]
	v_fma_f64 v[178:179], v[219:220], s[18:19], v[245:246]
	v_add_f64 v[62:63], v[174:175], v[62:63]
	v_mul_f64 v[12:13], v[239:240], s[56:57]
	v_fma_f64 v[174:175], v[217:218], s[18:19], -v[22:23]
	v_fma_f64 v[16:17], v[181:182], s[40:41], v[16:17]
	v_add_f64 v[60:61], v[60:61], v[172:173]
	v_fma_f64 v[6:7], v[211:212], s[30:31], -v[6:7]
	v_add_f64 v[10:11], v[18:19], v[10:11]
	v_fma_f64 v[4:5], v[235:236], s[24:25], -v[4:5]
	v_mul_f64 v[20:21], v[237:238], s[56:57]
	v_add_f64 v[62:63], v[178:179], v[62:63]
	v_fma_f64 v[178:179], v[225:226], s[24:25], -v[12:13]
	v_fma_f64 v[14:15], v[187:188], s[8:9], v[14:15]
	v_add_f64 v[60:61], v[174:175], v[60:61]
	v_add_f64 v[16:17], v[108:109], v[16:17]
	v_fma_f64 v[245:246], v[219:220], s[18:19], -v[245:246]
	v_add_f64 v[6:7], v[6:7], v[10:11]
	v_mul_f64 v[253:254], v[241:242], s[48:49]
	v_fma_f64 v[172:173], v[227:228], s[24:25], v[20:21]
	v_mul_f64 v[18:19], v[243:244], s[48:49]
	buffer_store_dword v40, off, s[64:67], 0 offset:172 ; 4-byte Folded Spill
	s_nop 0
	buffer_store_dword v41, off, s[64:67], 0 offset:176 ; 4-byte Folded Spill
	buffer_store_dword v42, off, s[64:67], 0 offset:180 ; 4-byte Folded Spill
	;; [unrolled: 1-line block ×3, first 2 shown]
	v_add_f64 v[60:61], v[178:179], v[60:61]
	v_add_f64 v[178:179], v[4:5], v[0:1]
	v_fma_f64 v[0:1], v[193:194], s[34:35], v[176:177]
	v_add_f64 v[4:5], v[14:15], v[16:17]
	v_fma_f64 v[14:15], v[227:228], s[24:25], -v[20:21]
	v_add_f64 v[6:7], v[245:246], v[6:7]
	buffer_store_dword v154, off, s[64:67], 0 offset:220 ; 4-byte Folded Spill
	s_nop 0
	buffer_store_dword v155, off, s[64:67], 0 offset:224 ; 4-byte Folded Spill
	buffer_store_dword v156, off, s[64:67], 0 offset:228 ; 4-byte Folded Spill
	;; [unrolled: 1-line block ×3, first 2 shown]
	v_mov_b32_e32 v157, v70
	v_mov_b32_e32 v156, v69
	;; [unrolled: 1-line block ×6, first 2 shown]
	v_fma_f64 v[174:175], v[235:236], s[22:23], v[253:254]
	v_add_f64 v[10:11], v[172:173], v[62:63]
	v_fma_f64 v[62:63], v[233:234], s[22:23], -v[18:19]
	v_add_f64 v[176:177], v[8:9], v[2:3]
	v_fma_f64 v[2:3], v[201:202], s[16:17], v[249:250]
	v_mul_f64 v[8:9], v[68:69], s[52:53]
	v_add_f64 v[0:1], v[0:1], v[4:5]
	v_add_f64 v[6:7], v[14:15], v[6:7]
	v_mul_f64 v[14:15], v[32:33], s[52:53]
	v_add_f64 v[174:175], v[174:175], v[10:11]
	v_add_f64 v[172:173], v[62:63], v[60:61]
	v_fma_f64 v[10:11], v[217:218], s[18:19], v[22:23]
	v_fma_f64 v[16:17], v[207:208], s[30:31], v[251:252]
	v_mul_f64 v[20:21], v[213:214], s[26:27]
	v_fma_f64 v[22:23], v[183:184], s[30:31], v[8:9]
	v_add_f64 v[0:1], v[2:3], v[0:1]
	v_mul_f64 v[2:3], v[152:153], s[26:27]
	v_fma_f64 v[60:61], v[181:182], s[30:31], -v[14:15]
	s_mov_b32 s57, 0x3fc7851a
	s_mov_b32 s56, s10
	v_mul_f64 v[62:63], v[205:206], s[56:57]
	v_fma_f64 v[245:246], v[189:190], s[24:25], v[20:21]
	v_add_f64 v[22:23], v[110:111], v[22:23]
	v_add_f64 v[0:1], v[16:17], v[0:1]
	v_mul_f64 v[16:17], v[34:35], s[56:57]
	v_fma_f64 v[249:250], v[187:188], s[24:25], -v[2:3]
	v_add_f64 v[60:61], v[108:109], v[60:61]
	v_fma_f64 v[4:5], v[235:236], s[22:23], -v[253:254]
	v_mul_f64 v[251:252], v[215:216], s[54:55]
	v_fma_f64 v[253:254], v[195:196], s[8:9], v[62:63]
	v_add_f64 v[22:23], v[245:246], v[22:23]
	v_add_f64 v[0:1], v[10:11], v[0:1]
	v_mul_f64 v[10:11], v[221:222], s[54:55]
	v_fma_f64 v[245:246], v[193:194], s[8:9], -v[16:17]
	v_fma_f64 v[8:9], v[183:184], s[30:31], -v[8:9]
	v_add_f64 v[60:61], v[249:250], v[60:61]
	v_mov_b32_e32 v164, v65
	v_mov_b32_e32 v165, v66
	;; [unrolled: 1-line block ×11, first 2 shown]
	v_mul_f64 v[249:250], v[223:224], s[48:49]
	v_mov_b32_e32 v50, v26
	v_mov_b32_e32 v49, v25
	;; [unrolled: 1-line block ×3, first 2 shown]
	v_fma_f64 v[24:25], v[203:204], s[34:35], v[251:252]
	v_add_f64 v[22:23], v[253:254], v[22:23]
	v_mul_f64 v[26:27], v[199:200], s[48:49]
	v_fma_f64 v[253:254], v[201:202], s[34:35], -v[10:11]
	v_fma_f64 v[20:21], v[189:190], s[24:25], -v[20:21]
	v_add_f64 v[8:9], v[110:111], v[8:9]
	v_add_f64 v[60:61], v[245:246], v[60:61]
	v_mul_f64 v[245:246], v[231:232], s[42:43]
	v_fma_f64 v[185:186], v[211:212], s[22:23], v[249:250]
	v_add_f64 v[22:23], v[24:25], v[22:23]
	v_mul_f64 v[24:25], v[229:230], s[42:43]
	v_fma_f64 v[191:192], v[207:208], s[22:23], -v[26:27]
	v_fma_f64 v[62:63], v[195:196], s[8:9], -v[62:63]
	v_add_f64 v[8:9], v[20:21], v[8:9]
	v_add_f64 v[20:21], v[253:254], v[60:61]
	v_fma_f64 v[12:13], v[225:226], s[24:25], v[12:13]
	v_mul_f64 v[60:61], v[237:238], s[46:47]
	v_fma_f64 v[253:254], v[219:220], s[16:17], v[245:246]
	v_add_f64 v[22:23], v[185:186], v[22:23]
	v_mul_f64 v[185:186], v[239:240], s[46:47]
	v_fma_f64 v[197:198], v[217:218], s[16:17], -v[24:25]
	v_fma_f64 v[251:252], v[203:204], s[34:35], -v[251:252]
	v_add_f64 v[8:9], v[62:63], v[8:9]
	v_add_f64 v[20:21], v[191:192], v[20:21]
	v_mul_f64 v[191:192], v[241:242], s[20:21]
	v_fma_f64 v[62:63], v[227:228], s[40:41], v[60:61]
	v_add_f64 v[22:23], v[253:254], v[22:23]
	v_mul_f64 v[253:254], v[243:244], s[20:21]
	v_fma_f64 v[209:210], v[225:226], s[40:41], -v[185:186]
	v_fma_f64 v[249:250], v[211:212], s[22:23], -v[249:250]
	v_add_f64 v[8:9], v[251:252], v[8:9]
	v_add_f64 v[20:21], v[197:198], v[20:21]
	v_fma_f64 v[18:19], v[233:234], s[22:23], v[18:19]
	v_add_f64 v[0:1], v[12:13], v[0:1]
	v_fma_f64 v[12:13], v[235:236], s[18:19], v[191:192]
	v_add_f64 v[22:23], v[62:63], v[22:23]
	v_fma_f64 v[197:198], v[233:234], s[18:19], -v[253:254]
	v_fma_f64 v[245:246], v[219:220], s[16:17], -v[245:246]
	v_add_f64 v[8:9], v[249:250], v[8:9]
	v_add_f64 v[20:21], v[209:210], v[20:21]
	;; [unrolled: 1-line block ×4, first 2 shown]
	v_fma_f64 v[0:1], v[181:182], s[30:31], v[14:15]
	v_mul_f64 v[6:7], v[68:69], s[50:51]
	v_add_f64 v[62:63], v[12:13], v[22:23]
	v_fma_f64 v[4:5], v[227:228], s[40:41], -v[60:61]
	v_add_f64 v[8:9], v[245:246], v[8:9]
	v_add_f64 v[60:61], v[197:198], v[20:21]
	v_fma_f64 v[2:3], v[187:188], s[24:25], v[2:3]
	v_mul_f64 v[12:13], v[32:33], s[50:51]
	v_add_f64 v[0:1], v[108:109], v[0:1]
	v_mul_f64 v[18:19], v[213:214], s[46:47]
	v_fma_f64 v[20:21], v[183:184], s[22:23], v[6:7]
	v_fma_f64 v[14:15], v[235:236], s[18:19], -v[191:192]
	v_add_f64 v[4:5], v[4:5], v[8:9]
	v_fma_f64 v[8:9], v[193:194], s[8:9], v[16:17]
	v_mul_f64 v[16:17], v[152:153], s[46:47]
	v_fma_f64 v[22:23], v[181:182], s[22:23], -v[12:13]
	v_add_f64 v[0:1], v[2:3], v[0:1]
	v_mul_f64 v[191:192], v[205:206], s[26:27]
	v_fma_f64 v[2:3], v[189:190], s[40:41], v[18:19]
	v_add_f64 v[20:21], v[110:111], v[20:21]
	v_fma_f64 v[10:11], v[201:202], s[34:35], v[10:11]
	v_mul_f64 v[197:198], v[34:35], s[26:27]
	v_fma_f64 v[209:210], v[187:188], s[40:41], -v[16:17]
	v_add_f64 v[22:23], v[108:109], v[22:23]
	v_add_f64 v[0:1], v[8:9], v[0:1]
	v_mul_f64 v[8:9], v[215:216], s[10:11]
	v_fma_f64 v[245:246], v[195:196], s[24:25], v[191:192]
	v_add_f64 v[2:3], v[2:3], v[20:21]
	v_mov_b32_e32 v40, v52
	v_mov_b32_e32 v41, v53
	;; [unrolled: 1-line block ×5, first 2 shown]
	v_fma_f64 v[20:21], v[207:208], s[22:23], v[26:27]
	v_mul_f64 v[26:27], v[221:222], s[10:11]
	v_mov_b32_e32 v54, v30
	v_mov_b32_e32 v53, v29
	;; [unrolled: 1-line block ×3, first 2 shown]
	v_fma_f64 v[28:29], v[193:194], s[24:25], -v[197:198]
	v_add_f64 v[22:23], v[209:210], v[22:23]
	v_add_f64 v[0:1], v[10:11], v[0:1]
	v_mul_f64 v[10:11], v[223:224], s[60:61]
	v_fma_f64 v[30:31], v[203:204], s[8:9], v[8:9]
	v_add_f64 v[2:3], v[245:246], v[2:3]
	v_fma_f64 v[24:25], v[217:218], s[16:17], v[24:25]
	v_mul_f64 v[209:210], v[199:200], s[60:61]
	v_fma_f64 v[245:246], v[201:202], s[8:9], -v[26:27]
	v_add_f64 v[22:23], v[28:29], v[22:23]
	v_add_f64 v[0:1], v[20:21], v[0:1]
	v_mul_f64 v[20:21], v[231:232], s[54:55]
	v_fma_f64 v[28:29], v[211:212], s[18:19], v[10:11]
	v_add_f64 v[2:3], v[30:31], v[2:3]
	v_mov_b32_e32 v163, v33
	v_mov_b32_e32 v167, v35
	v_fma_f64 v[30:31], v[225:226], s[40:41], v[185:186]
	v_mul_f64 v[185:186], v[229:230], s[54:55]
	v_mov_b32_e32 v162, v32
	v_fma_f64 v[32:33], v[207:208], s[18:19], -v[209:210]
	v_add_f64 v[22:23], v[245:246], v[22:23]
	v_add_f64 v[0:1], v[24:25], v[0:1]
	v_mul_f64 v[24:25], v[237:238], s[44:45]
	v_mov_b32_e32 v166, v34
	v_fma_f64 v[34:35], v[219:220], s[34:35], v[20:21]
	v_add_f64 v[2:3], v[28:29], v[2:3]
	v_fma_f64 v[6:7], v[183:184], s[22:23], -v[6:7]
	v_fma_f64 v[28:29], v[233:234], s[18:19], v[253:254]
	v_mul_f64 v[245:246], v[239:240], s[44:45]
	v_fma_f64 v[253:254], v[217:218], s[34:35], -v[185:186]
	v_add_f64 v[22:23], v[32:33], v[22:23]
	v_add_f64 v[0:1], v[30:31], v[0:1]
	v_fma_f64 v[32:33], v[227:228], s[30:31], v[24:25]
	v_add_f64 v[34:35], v[34:35], v[2:3]
	v_add_f64 v[2:3], v[14:15], v[4:5]
	v_fma_f64 v[4:5], v[189:190], s[40:41], -v[18:19]
	v_add_f64 v[6:7], v[110:111], v[6:7]
	v_fma_f64 v[38:39], v[225:226], s[30:31], -v[245:246]
	v_add_f64 v[22:23], v[253:254], v[22:23]
	v_add_f64 v[0:1], v[28:29], v[0:1]
	v_fma_f64 v[12:13], v[181:182], s[22:23], v[12:13]
	v_add_f64 v[28:29], v[32:33], v[34:35]
	v_fma_f64 v[32:33], v[195:196], s[24:25], -v[191:192]
	v_mul_f64 v[34:35], v[68:69], s[42:43]
	v_add_f64 v[4:5], v[4:5], v[6:7]
	v_fma_f64 v[6:7], v[219:220], s[34:35], -v[20:21]
	v_add_f64 v[22:23], v[38:39], v[22:23]
	v_fma_f64 v[16:17], v[187:188], s[40:41], v[16:17]
	v_add_f64 v[12:13], v[108:109], v[12:13]
	v_fma_f64 v[8:9], v[203:204], s[8:9], -v[8:9]
	v_mul_f64 v[20:21], v[213:214], s[50:51]
	v_fma_f64 v[38:39], v[183:184], s[16:17], v[34:35]
	v_add_f64 v[4:5], v[32:33], v[4:5]
	v_add_f64 v[114:115], v[110:111], v[114:115]
	;; [unrolled: 1-line block ×3, first 2 shown]
	v_fma_f64 v[10:11], v[211:212], s[18:19], -v[10:11]
	v_fma_f64 v[32:33], v[193:194], s[24:25], v[197:198]
	v_add_f64 v[12:13], v[16:17], v[12:13]
	v_mul_f64 v[16:17], v[205:206], s[52:53]
	v_fma_f64 v[191:192], v[189:190], s[22:23], v[20:21]
	v_add_f64 v[38:39], v[110:111], v[38:39]
	v_add_f64 v[4:5], v[8:9], v[4:5]
	v_fma_f64 v[8:9], v[201:202], s[8:9], v[26:27]
	v_add_f64 v[26:27], v[114:115], v[122:123]
	v_add_f64 v[112:113], v[112:113], v[120:121]
	;; [unrolled: 1-line block ×3, first 2 shown]
	v_mul_f64 v[32:33], v[215:216], s[46:47]
	v_fma_f64 v[114:115], v[195:196], s[30:31], v[16:17]
	v_add_f64 v[38:39], v[191:192], v[38:39]
	v_add_f64 v[4:5], v[10:11], v[4:5]
	v_mul_f64 v[30:31], v[241:242], s[36:37]
	v_add_f64 v[26:27], v[26:27], v[118:119]
	v_add_f64 v[112:113], v[112:113], v[116:117]
	v_fma_f64 v[24:25], v[227:228], s[30:31], -v[24:25]
	v_fma_f64 v[116:117], v[203:204], s[40:41], v[32:33]
	v_fma_f64 v[10:11], v[207:208], s[18:19], v[209:210]
	v_add_f64 v[38:39], v[114:115], v[38:39]
	v_add_f64 v[4:5], v[6:7], v[4:5]
	v_fma_f64 v[14:15], v[235:236], s[16:17], v[30:31]
	v_add_f64 v[26:27], v[26:27], v[126:127]
	v_add_f64 v[112:113], v[112:113], v[124:125]
	v_fma_f64 v[30:31], v[235:236], s[16:17], -v[30:31]
	v_add_f64 v[8:9], v[8:9], v[12:13]
	v_mul_f64 v[12:13], v[223:224], s[38:39]
	v_add_f64 v[38:39], v[116:117], v[38:39]
	v_add_f64 v[4:5], v[24:25], v[4:5]
	v_fma_f64 v[6:7], v[217:218], s[34:35], v[185:186]
	v_add_f64 v[26:27], v[26:27], v[130:131]
	v_add_f64 v[116:117], v[112:113], v[128:129]
	buffer_load_dword v185, off, s[64:67], 0 ; 4-byte Folded Reload
	v_add_f64 v[8:9], v[10:11], v[8:9]
	v_mul_f64 v[10:11], v[231:232], s[26:27]
	v_fma_f64 v[114:115], v[211:212], s[34:35], v[12:13]
	v_add_f64 v[112:113], v[30:31], v[4:5]
	v_fma_f64 v[34:35], v[183:184], s[16:17], -v[34:35]
	v_add_f64 v[4:5], v[26:27], v[134:135]
	v_add_f64 v[26:27], v[116:117], v[132:133]
	v_mul_f64 v[126:127], v[152:153], s[50:51]
	v_fma_f64 v[20:21], v[189:190], s[22:23], -v[20:21]
	v_fma_f64 v[118:119], v[219:220], s[24:25], v[10:11]
	v_add_f64 v[38:39], v[114:115], v[38:39]
	v_mul_f64 v[130:131], v[166:167], s[52:53]
	v_add_f64 v[34:35], v[110:111], v[34:35]
	v_add_f64 v[4:5], v[4:5], v[138:139]
	v_add_f64 v[26:27], v[26:27], v[136:137]
	v_fma_f64 v[110:111], v[187:188], s[22:23], v[126:127]
	v_fma_f64 v[16:17], v[195:196], s[30:31], -v[16:17]
	v_mul_f64 v[124:125], v[221:222], s[46:47]
	v_add_f64 v[38:39], v[118:119], v[38:39]
	v_mul_f64 v[118:119], v[162:163], s[42:43]
	v_add_f64 v[20:21], v[20:21], v[34:35]
	v_add_f64 v[4:5], v[4:5], v[142:143]
	;; [unrolled: 1-line block ×3, first 2 shown]
	v_fma_f64 v[34:35], v[193:194], s[30:31], v[130:131]
	v_fma_f64 v[32:33], v[203:204], s[40:41], -v[32:33]
	v_mul_f64 v[122:123], v[199:200], s[38:39]
	v_fma_f64 v[12:13], v[211:212], s[34:35], -v[12:13]
	v_fma_f64 v[128:129], v[181:182], s[16:17], v[118:119]
	v_fma_f64 v[118:119], v[181:182], s[16:17], -v[118:119]
	v_add_f64 v[4:5], v[4:5], v[106:107]
	v_add_f64 v[26:27], v[26:27], v[104:105]
	v_fma_f64 v[106:107], v[187:188], s[22:23], -v[126:127]
	v_add_f64 v[16:17], v[16:17], v[20:21]
	v_fma_f64 v[20:21], v[201:202], s[40:41], v[124:125]
	v_mul_f64 v[36:37], v[243:244], s[36:37]
	v_add_f64 v[104:105], v[108:109], v[128:129]
	v_add_f64 v[108:109], v[108:109], v[118:119]
	v_add_f64 v[4:5], v[4:5], v[54:55]
	v_add_f64 v[26:27], v[26:27], v[52:53]
	v_mov_b32_e32 v55, v43
	v_mov_b32_e32 v54, v42
	;; [unrolled: 1-line block ×4, first 2 shown]
	buffer_load_dword v40, off, s[64:67], 0 offset:124 ; 4-byte Folded Reload
	buffer_load_dword v41, off, s[64:67], 0 offset:128 ; 4-byte Folded Reload
	;; [unrolled: 1-line block ×4, first 2 shown]
	v_add_f64 v[104:105], v[110:111], v[104:105]
	v_fma_f64 v[110:111], v[193:194], s[30:31], -v[130:131]
	v_add_f64 v[106:107], v[106:107], v[108:109]
	v_add_f64 v[16:17], v[32:33], v[16:17]
	v_fma_f64 v[24:25], v[225:226], s[30:31], v[245:246]
	v_add_f64 v[6:7], v[6:7], v[8:9]
	v_mul_f64 v[8:9], v[237:238], s[20:21]
	v_mul_f64 v[120:121], v[229:230], s[26:27]
	v_add_f64 v[34:35], v[34:35], v[104:105]
	v_fma_f64 v[104:105], v[201:202], s[40:41], -v[124:125]
	v_add_f64 v[106:107], v[110:111], v[106:107]
	v_fma_f64 v[32:33], v[207:208], s[34:35], v[122:123]
	v_fma_f64 v[10:11], v[219:220], s[24:25], -v[10:11]
	v_add_f64 v[12:13], v[12:13], v[16:17]
	v_fma_f64 v[18:19], v[233:234], s[16:17], -v[36:37]
	v_fma_f64 v[30:31], v[233:234], s[16:17], v[36:37]
	v_add_f64 v[20:21], v[20:21], v[34:35]
	v_fma_f64 v[34:35], v[207:208], s[34:35], -v[122:123]
	v_add_f64 v[104:105], v[104:105], v[106:107]
	v_add_f64 v[24:25], v[24:25], v[6:7]
	v_mul_f64 v[6:7], v[241:242], s[10:11]
	v_fma_f64 v[36:37], v[227:228], s[18:19], v[8:9]
	v_mul_f64 v[116:117], v[239:240], s[20:21]
	v_fma_f64 v[16:17], v[217:218], s[24:25], v[120:121]
	v_add_f64 v[20:21], v[32:33], v[20:21]
	v_fma_f64 v[32:33], v[217:218], s[24:25], -v[120:121]
	v_add_f64 v[34:35], v[34:35], v[104:105]
	v_fma_f64 v[8:9], v[227:228], s[18:19], -v[8:9]
	v_add_f64 v[10:11], v[10:11], v[12:13]
	v_mul_f64 v[114:115], v[243:244], s[10:11]
	v_fma_f64 v[12:13], v[225:226], s[18:19], v[116:117]
	v_add_f64 v[36:37], v[36:37], v[38:39]
	v_add_f64 v[16:17], v[16:17], v[20:21]
	v_fma_f64 v[20:21], v[225:226], s[18:19], -v[116:117]
	v_add_f64 v[32:33], v[32:33], v[34:35]
	v_fma_f64 v[34:35], v[235:236], s[8:9], -v[6:7]
	v_add_f64 v[8:9], v[8:9], v[10:11]
	v_fma_f64 v[104:105], v[233:234], s[8:9], v[114:115]
	v_fma_f64 v[38:39], v[233:234], s[8:9], -v[114:115]
	v_add_f64 v[110:111], v[30:31], v[24:25]
	v_add_f64 v[12:13], v[12:13], v[16:17]
	v_fma_f64 v[16:17], v[235:236], s[8:9], v[6:7]
	v_add_f64 v[20:21], v[20:21], v[32:33]
	v_add_f64 v[14:15], v[14:15], v[28:29]
	v_add_f64 v[6:7], v[34:35], v[8:9]
	s_waitcnt vmcnt(0)
	v_add_f64 v[4:5], v[4:5], v[42:43]
	v_add_f64 v[26:27], v[26:27], v[40:41]
	buffer_load_dword v40, off, s[64:67], 0 offset:172 ; 4-byte Folded Reload
	buffer_load_dword v41, off, s[64:67], 0 offset:176 ; 4-byte Folded Reload
	;; [unrolled: 1-line block ×12, first 2 shown]
	v_add_f64 v[4:5], v[4:5], v[50:51]
	v_add_f64 v[26:27], v[26:27], v[48:49]
	v_mov_b32_e32 v48, v56
	v_mov_b32_e32 v49, v57
	v_mov_b32_e32 v50, v58
	v_mov_b32_e32 v51, v59
	v_mov_b32_e32 v56, v64
	v_mov_b32_e32 v57, v65
	v_add_f64 v[4:5], v[4:5], v[46:47]
	v_add_f64 v[26:27], v[26:27], v[44:45]
	v_mov_b32_e32 v58, v66
	v_mov_b32_e32 v59, v67
	v_mov_b32_e32 v67, v154
	v_mov_b32_e32 v44, v158
	v_mov_b32_e32 v68, v155
	v_mov_b32_e32 v69, v156
	;; [unrolled: 8-line block ×3, first 2 shown]
	s_waitcnt vmcnt(4)
	v_add_f64 v[4:5], v[4:5], v[108:109]
	v_add_f64 v[26:27], v[26:27], v[106:107]
	s_waitcnt vmcnt(0)
	v_add_f64 v[10:11], v[4:5], v[10:11]
	v_add_f64 v[8:9], v[26:27], v[8:9]
	;; [unrolled: 1-line block ×6, first 2 shown]
	v_lshlrev_b32_e32 v20, 4, v255
	ds_write_b128 v20, v[8:11]
	ds_write_b128 v20, v[4:7] offset:16
	ds_write_b128 v20, v[110:113] offset:32
	;; [unrolled: 1-line block ×4, first 2 shown]
	buffer_load_dword v249, off, s[64:67], 0 offset:44 ; 4-byte Folded Reload
	buffer_load_dword v250, off, s[64:67], 0 offset:48 ; 4-byte Folded Reload
	;; [unrolled: 1-line block ×4, first 2 shown]
	ds_write_b128 v20, v[176:179] offset:80
	buffer_load_dword v0, off, s[64:67], 0 offset:220 ; 4-byte Folded Reload
	buffer_load_dword v1, off, s[64:67], 0 offset:224 ; 4-byte Folded Reload
	buffer_load_dword v2, off, s[64:67], 0 offset:228 ; 4-byte Folded Reload
	buffer_load_dword v3, off, s[64:67], 0 offset:232 ; 4-byte Folded Reload
	s_waitcnt vmcnt(0)
	ds_write_b128 v20, v[0:3] offset:96
	buffer_load_dword v0, off, s[64:67], 0 offset:204 ; 4-byte Folded Reload
	buffer_load_dword v1, off, s[64:67], 0 offset:208 ; 4-byte Folded Reload
	buffer_load_dword v2, off, s[64:67], 0 offset:212 ; 4-byte Folded Reload
	buffer_load_dword v3, off, s[64:67], 0 offset:216 ; 4-byte Folded Reload
	s_waitcnt vmcnt(0)
	;; [unrolled: 6-line block ×3, first 2 shown]
	ds_write_b128 v20, v[0:3] offset:128
	ds_write_b128 v20, v[144:147] offset:144
	buffer_load_dword v0, off, s[64:67], 0 offset:140 ; 4-byte Folded Reload
	buffer_load_dword v1, off, s[64:67], 0 offset:144 ; 4-byte Folded Reload
	;; [unrolled: 1-line block ×4, first 2 shown]
	s_waitcnt vmcnt(0)
	ds_write_b128 v20, v[0:3] offset:160
	buffer_load_dword v0, off, s[64:67], 0 offset:188 ; 4-byte Folded Reload
	buffer_load_dword v1, off, s[64:67], 0 offset:192 ; 4-byte Folded Reload
	;; [unrolled: 1-line block ×4, first 2 shown]
	s_waitcnt vmcnt(0)
	ds_write_b128 v20, v[0:3] offset:176
	ds_write_b128 v20, v[168:171] offset:192
	;; [unrolled: 1-line block ×6, first 2 shown]
.LBB0_17:
	s_or_b64 exec, exec, s[28:29]
	s_waitcnt lgkmcnt(0)
	s_barrier
	ds_read_b128 v[4:7], v180
	ds_read_b128 v[0:3], v180 offset:1632
	ds_read_b128 v[8:11], v180 offset:3264
	;; [unrolled: 1-line block ×5, first 2 shown]
	s_waitcnt lgkmcnt(4)
	v_mul_f64 v[28:29], v[54:55], v[2:3]
	v_mul_f64 v[30:31], v[54:55], v[0:1]
	s_waitcnt lgkmcnt(2)
	v_mul_f64 v[36:37], v[46:47], v[14:15]
	v_mul_f64 v[38:39], v[46:47], v[12:13]
	ds_read_b128 v[24:27], v180 offset:9792
	ds_read_b128 v[60:63], v180 offset:11424
	;; [unrolled: 1-line block ×3, first 2 shown]
	v_mul_f64 v[32:33], v[50:51], v[10:11]
	v_mul_f64 v[34:35], v[50:51], v[8:9]
	s_mov_b32 s11, 0x3fe491b7
	v_fma_f64 v[0:1], v[52:53], v[0:1], v[28:29]
	v_fma_f64 v[2:3], v[52:53], v[2:3], -v[30:31]
	s_waitcnt lgkmcnt(4)
	v_mul_f64 v[28:29], v[42:43], v[18:19]
	v_mul_f64 v[30:31], v[42:43], v[16:17]
	v_fma_f64 v[12:13], v[44:45], v[12:13], v[36:37]
	v_fma_f64 v[14:15], v[44:45], v[14:15], -v[38:39]
	buffer_load_dword v42, off, s[64:67], 0 offset:76 ; 4-byte Folded Reload
	buffer_load_dword v43, off, s[64:67], 0 offset:80 ; 4-byte Folded Reload
	;; [unrolled: 1-line block ×4, first 2 shown]
	v_fma_f64 v[8:9], v[48:49], v[8:9], v[32:33]
	v_fma_f64 v[10:11], v[48:49], v[10:11], -v[34:35]
	s_waitcnt lgkmcnt(3)
	v_mul_f64 v[36:37], v[251:252], v[22:23]
	v_fma_f64 v[16:17], v[40:41], v[16:17], v[28:29]
	v_fma_f64 v[18:19], v[40:41], v[18:19], -v[30:31]
	v_mul_f64 v[38:39], v[251:252], v[20:21]
	s_waitcnt lgkmcnt(2)
	v_mul_f64 v[40:41], v[58:59], v[26:27]
	s_mov_b32 s10, 0x523c161c
	s_mov_b32 s18, 0x8c811c17
	;; [unrolled: 1-line block ×3, first 2 shown]
	v_fma_f64 v[20:21], v[249:250], v[20:21], v[36:37]
	s_mov_b32 s8, 0xe8584cab
	s_mov_b32 s20, 0xa2cf5039
	v_fma_f64 v[22:23], v[249:250], v[22:23], -v[38:39]
	s_mov_b32 s9, 0x3febb67a
	s_mov_b32 s21, 0x3fe8836f
	;; [unrolled: 1-line block ×4, first 2 shown]
	v_add_f64 v[52:53], v[16:17], v[20:21]
	s_mov_b32 s17, 0x3fd5e3a8
	s_mov_b32 s23, 0x3fc63a1a
	v_add_f64 v[54:55], v[18:19], v[22:23]
	s_mov_b32 s24, 0x42522d1b
	s_mov_b32 s25, 0xbfee11f6
	;; [unrolled: 1-line block ×4, first 2 shown]
	s_waitcnt vmcnt(0) lgkmcnt(0)
	v_mul_f64 v[32:33], v[44:45], v[106:107]
	v_mul_f64 v[34:35], v[44:45], v[104:105]
	buffer_load_dword v44, off, s[64:67], 0 offset:60 ; 4-byte Folded Reload
	buffer_load_dword v45, off, s[64:67], 0 offset:64 ; 4-byte Folded Reload
	;; [unrolled: 1-line block ×4, first 2 shown]
	s_waitcnt vmcnt(0)
	s_barrier
	v_fma_f64 v[32:33], v[42:43], v[104:105], v[32:33]
	v_fma_f64 v[34:35], v[42:43], v[106:107], -v[34:35]
	v_mul_f64 v[42:43], v[58:59], v[24:25]
	v_fma_f64 v[24:25], v[56:57], v[24:25], v[40:41]
	v_fma_f64 v[58:59], v[54:55], s[20:21], v[6:7]
	v_add_f64 v[36:37], v[0:1], -v[32:33]
	v_add_f64 v[38:39], v[2:3], -v[34:35]
	v_fma_f64 v[26:27], v[56:57], v[26:27], -v[42:43]
	v_add_f64 v[32:33], v[0:1], v[32:33]
	v_add_f64 v[34:35], v[2:3], v[34:35]
	v_add_f64 v[48:49], v[12:13], -v[24:25]
	v_add_f64 v[24:25], v[12:13], v[24:25]
	v_fma_f64 v[56:57], v[52:53], s[20:21], v[4:5]
	v_add_f64 v[50:51], v[14:15], -v[26:27]
	v_add_f64 v[26:27], v[14:15], v[26:27]
	v_fma_f64 v[58:59], v[34:35], s[22:23], v[58:59]
	v_add_f64 v[108:109], v[4:5], v[24:25]
	v_fma_f64 v[56:57], v[32:33], s[22:23], v[56:57]
	v_add_f64 v[110:111], v[6:7], v[26:27]
	v_fma_f64 v[58:59], v[26:27], -0.5, v[58:59]
	v_fma_f64 v[56:57], v[24:25], -0.5, v[56:57]
	v_mul_f64 v[28:29], v[46:47], v[62:63]
	v_mul_f64 v[30:31], v[46:47], v[60:61]
	;; [unrolled: 1-line block ×3, first 2 shown]
	v_fma_f64 v[28:29], v[44:45], v[60:61], v[28:29]
	v_fma_f64 v[30:31], v[44:45], v[62:63], -v[30:31]
	v_mul_f64 v[44:45], v[36:37], s[10:11]
	s_mov_b32 s11, 0xbfe491b7
	v_add_f64 v[40:41], v[8:9], -v[28:29]
	v_add_f64 v[42:43], v[10:11], -v[30:31]
	v_add_f64 v[28:29], v[8:9], v[28:29]
	v_add_f64 v[30:31], v[10:11], v[30:31]
	v_fma_f64 v[8:9], v[32:33], s[20:21], v[4:5]
	v_fma_f64 v[10:11], v[34:35], s[20:21], v[6:7]
	;; [unrolled: 1-line block ×4, first 2 shown]
	v_add_f64 v[44:45], v[16:17], -v[20:21]
	v_add_f64 v[46:47], v[18:19], -v[22:23]
	v_fma_f64 v[106:107], v[30:31], s[20:21], v[6:7]
	v_fma_f64 v[0:1], v[48:49], s[8:9], v[0:1]
	;; [unrolled: 1-line block ×3, first 2 shown]
	v_mul_f64 v[14:15], v[46:47], s[10:11]
	v_add_f64 v[104:105], v[46:47], v[38:39]
	v_fma_f64 v[12:13], v[44:45], s[16:17], v[0:1]
	v_fma_f64 v[0:1], v[28:29], s[22:23], v[8:9]
	;; [unrolled: 1-line block ×3, first 2 shown]
	v_mul_f64 v[10:11], v[44:45], s[10:11]
	v_fma_f64 v[14:15], v[38:39], s[18:19], v[14:15]
	v_fma_f64 v[2:3], v[46:47], s[16:17], v[2:3]
	v_mul_f64 v[46:47], v[46:47], s[18:19]
	v_fma_f64 v[0:1], v[24:25], -0.5, v[0:1]
	v_fma_f64 v[8:9], v[26:27], -0.5, v[8:9]
	v_fma_f64 v[10:11], v[36:37], s[18:19], v[10:11]
	v_fma_f64 v[14:15], v[50:51], s[26:27], v[14:15]
	v_fma_f64 v[0:1], v[52:53], s[24:25], v[0:1]
	v_fma_f64 v[60:61], v[54:55], s[24:25], v[8:9]
	v_fma_f64 v[62:63], v[48:49], s[26:27], v[10:11]
	v_add_f64 v[8:9], v[0:1], -v[2:3]
	v_add_f64 v[10:11], v[12:13], v[60:61]
	v_fma_f64 v[60:61], v[40:41], s[16:17], v[62:63]
	v_fma_f64 v[62:63], v[42:43], s[16:17], v[14:15]
	;; [unrolled: 1-line block ×4, first 2 shown]
	v_add_f64 v[58:59], v[44:45], v[36:37]
	v_mul_f64 v[44:45], v[44:45], s[18:19]
	v_fma_f64 v[0:1], v[2:3], 2.0, v[8:9]
	v_fma_f64 v[2:3], v[12:13], -2.0, v[10:11]
	v_add_f64 v[30:31], v[30:31], v[34:35]
	v_add_f64 v[12:13], v[14:15], -v[62:63]
	v_add_f64 v[14:15], v[60:61], v[56:57]
	v_add_f64 v[56:57], v[58:59], -v[40:41]
	v_add_f64 v[58:59], v[104:105], -v[42:43]
	v_fma_f64 v[104:105], v[28:29], s[20:21], v[4:5]
	v_add_f64 v[28:29], v[28:29], v[32:33]
	v_fma_f64 v[40:41], v[40:41], s[10:11], -v[44:45]
	v_fma_f64 v[42:43], v[42:43], s[10:11], -v[46:47]
	v_fma_f64 v[46:47], v[54:55], s[22:23], v[106:107]
	v_add_f64 v[54:55], v[54:55], v[30:31]
	v_add_f64 v[30:31], v[26:27], v[30:31]
	v_fma_f64 v[44:45], v[52:53], s[22:23], v[104:105]
	v_add_f64 v[52:53], v[52:53], v[28:29]
	v_add_f64 v[28:29], v[24:25], v[28:29]
	v_fma_f64 v[40:41], v[48:49], s[8:9], v[40:41]
	v_fma_f64 v[42:43], v[50:51], s[8:9], v[42:43]
	v_fma_f64 v[26:27], v[26:27], -0.5, v[46:47]
	v_add_f64 v[18:19], v[18:19], v[30:31]
	v_fma_f64 v[46:47], v[54:55], -0.5, v[110:111]
	v_fma_f64 v[24:25], v[24:25], -0.5, v[44:45]
	;; [unrolled: 1-line block ×3, first 2 shown]
	v_add_f64 v[16:17], v[16:17], v[28:29]
	v_fma_f64 v[36:37], v[36:37], s[16:17], v[40:41]
	v_fma_f64 v[38:39], v[38:39], s[16:17], v[42:43]
	;; [unrolled: 1-line block ×3, first 2 shown]
	v_add_f64 v[34:35], v[22:23], v[18:19]
	v_mul_f64 v[30:31], v[56:57], s[8:9]
	v_fma_f64 v[24:25], v[32:33], s[24:25], v[24:25]
	v_mul_f64 v[28:29], v[58:59], s[8:9]
	v_add_f64 v[32:33], v[20:21], v[16:17]
	v_fma_f64 v[16:17], v[58:59], s[26:27], v[44:45]
	v_fma_f64 v[18:19], v[56:57], s[8:9], v[46:47]
	v_add_f64 v[22:23], v[36:37], v[26:27]
	v_add_f64 v[6:7], v[6:7], v[34:35]
	v_fma_f64 v[26:27], v[60:61], -2.0, v[14:15]
	v_add_f64 v[20:21], v[24:25], -v[38:39]
	v_fma_f64 v[24:25], v[62:63], 2.0, v[12:13]
	v_add_f64 v[4:5], v[4:5], v[32:33]
	v_fma_f64 v[28:29], v[28:29], 2.0, v[16:17]
	v_fma_f64 v[30:31], v[30:31], -2.0, v[18:19]
	v_fma_f64 v[34:35], v[36:37], -2.0, v[22:23]
	v_fma_f64 v[32:33], v[38:39], 2.0, v[20:21]
	ds_write_b128 v247, v[4:7]
	ds_write_b128 v247, v[8:11] offset:272
	ds_write_b128 v247, v[12:15] offset:544
	;; [unrolled: 1-line block ×8, first 2 shown]
	s_waitcnt lgkmcnt(0)
	s_barrier
	ds_read_b128 v[8:11], v180
	ds_read_b128 v[12:15], v180 offset:1632
	ds_read_b128 v[24:27], v180 offset:7344
	;; [unrolled: 1-line block ×7, first 2 shown]
	s_and_saveexec_b64 s[8:9], s[2:3]
	s_cbranch_execz .LBB0_19
; %bb.18:
	ds_read_b128 v[0:3], v180 offset:6528
	ds_read_b128 v[144:147], v180 offset:13872
.LBB0_19:
	s_or_b64 exec, exec, s[8:9]
	buffer_load_dword v52, off, s[64:67], 0 offset:92 ; 4-byte Folded Reload
	buffer_load_dword v53, off, s[64:67], 0 offset:96 ; 4-byte Folded Reload
	;; [unrolled: 1-line block ×4, first 2 shown]
	s_waitcnt lgkmcnt(4)
	v_mul_f64 v[40:41], v[78:79], v[22:23]
	v_mul_f64 v[42:43], v[78:79], v[20:21]
	s_waitcnt lgkmcnt(1)
	v_mul_f64 v[44:45], v[69:70], v[34:35]
	v_mul_f64 v[46:47], v[69:70], v[32:33]
	;; [unrolled: 3-line block ×3, first 2 shown]
	s_waitcnt vmcnt(0)
	s_barrier
	v_fma_f64 v[32:33], v[67:68], v[32:33], v[44:45]
	v_fma_f64 v[34:35], v[67:68], v[34:35], -v[46:47]
	v_mul_f64 v[36:37], v[54:55], v[26:27]
	v_mul_f64 v[38:39], v[54:55], v[24:25]
	v_fma_f64 v[24:25], v[52:53], v[24:25], v[36:37]
	v_fma_f64 v[26:27], v[52:53], v[26:27], -v[38:39]
	v_fma_f64 v[36:37], v[76:77], v[20:21], v[40:41]
	v_fma_f64 v[38:39], v[76:77], v[22:23], -v[42:43]
	;; [unrolled: 2-line block ×3, first 2 shown]
	v_add_f64 v[28:29], v[16:17], -v[32:33]
	v_add_f64 v[30:31], v[18:19], -v[34:35]
	v_add_f64 v[20:21], v[8:9], -v[24:25]
	v_add_f64 v[22:23], v[10:11], -v[26:27]
	v_add_f64 v[24:25], v[12:13], -v[36:37]
	v_add_f64 v[26:27], v[14:15], -v[38:39]
	v_add_f64 v[32:33], v[4:5], -v[40:41]
	v_add_f64 v[34:35], v[6:7], -v[42:43]
	v_fma_f64 v[16:17], v[16:17], 2.0, -v[28:29]
	v_fma_f64 v[18:19], v[18:19], 2.0, -v[30:31]
	;; [unrolled: 1-line block ×8, first 2 shown]
	ds_write_b128 v180, v[8:11]
	ds_write_b128 v180, v[20:23] offset:2448
	ds_write_b128 v66, v[12:15]
	ds_write_b128 v66, v[24:27] offset:2448
	ds_write_b128 v180, v[16:19] offset:5712
	ds_write_b128 v180, v[28:31] offset:8160
	ds_write_b128 v65, v[4:7] offset:9792
	ds_write_b128 v65, v[32:35] offset:12240
	s_and_saveexec_b64 s[8:9], s[2:3]
	s_cbranch_execz .LBB0_21
; %bb.20:
	buffer_load_dword v8, off, s[64:67], 0 offset:108 ; 4-byte Folded Reload
	buffer_load_dword v9, off, s[64:67], 0 offset:112 ; 4-byte Folded Reload
	;; [unrolled: 1-line block ×4, first 2 shown]
	s_waitcnt vmcnt(0)
	v_mul_f64 v[4:5], v[10:11], v[144:145]
	v_mul_f64 v[6:7], v[10:11], v[146:147]
	v_fma_f64 v[4:5], v[8:9], v[146:147], -v[4:5]
	v_fma_f64 v[8:9], v[8:9], v[144:145], v[6:7]
	v_add_f64 v[6:7], v[2:3], -v[4:5]
	v_add_f64 v[4:5], v[0:1], -v[8:9]
	v_fma_f64 v[2:3], v[2:3], 2.0, -v[6:7]
	v_fma_f64 v[0:1], v[0:1], 2.0, -v[4:5]
	ds_write_b128 v248, v[0:3] offset:9792
	ds_write_b128 v248, v[4:7] offset:12240
.LBB0_21:
	s_or_b64 exec, exec, s[8:9]
	s_waitcnt lgkmcnt(0)
	s_barrier
	ds_read_b128 v[0:3], v180 offset:4896
	ds_read_b128 v[4:7], v180
	ds_read_b128 v[8:11], v180 offset:1632
	ds_read_b128 v[12:15], v180 offset:9792
	;; [unrolled: 1-line block ×4, first 2 shown]
	s_waitcnt lgkmcnt(5)
	v_mul_f64 v[36:37], v[82:83], v[2:3]
	ds_read_b128 v[24:27], v180 offset:6528
	ds_read_b128 v[28:31], v180 offset:8160
	s_waitcnt lgkmcnt(4)
	v_mul_f64 v[40:41], v[86:87], v[14:15]
	v_mul_f64 v[38:39], v[82:83], v[0:1]
	;; [unrolled: 1-line block ×3, first 2 shown]
	s_waitcnt lgkmcnt(1)
	v_mul_f64 v[44:45], v[94:95], v[26:27]
	v_mul_f64 v[46:47], v[94:95], v[24:25]
	v_fma_f64 v[36:37], v[80:81], v[0:1], v[36:37]
	v_mul_f64 v[0:1], v[90:91], v[18:19]
	ds_read_b128 v[32:35], v180 offset:13056
	v_fma_f64 v[12:13], v[84:85], v[12:13], v[40:41]
	v_fma_f64 v[2:3], v[80:81], v[2:3], -v[38:39]
	v_fma_f64 v[14:15], v[84:85], v[14:15], -v[42:43]
	v_mul_f64 v[38:39], v[90:91], v[16:17]
	v_fma_f64 v[40:41], v[92:93], v[24:25], v[44:45]
	s_waitcnt lgkmcnt(1)
	v_mul_f64 v[24:25], v[102:103], v[30:31]
	v_mul_f64 v[42:43], v[102:103], v[28:29]
	v_fma_f64 v[26:27], v[92:93], v[26:27], -v[46:47]
	v_add_f64 v[44:45], v[36:37], v[12:13]
	v_fma_f64 v[46:47], v[88:89], v[16:17], v[0:1]
	s_waitcnt lgkmcnt(0)
	v_mul_f64 v[0:1], v[98:99], v[34:35]
	v_fma_f64 v[18:19], v[88:89], v[18:19], -v[38:39]
	v_mul_f64 v[16:17], v[98:99], v[32:33]
	v_add_f64 v[38:39], v[4:5], v[36:37]
	v_fma_f64 v[28:29], v[100:101], v[28:29], v[24:25]
	v_fma_f64 v[30:31], v[100:101], v[30:31], -v[42:43]
	v_fma_f64 v[24:25], v[44:45], -0.5, v[4:5]
	v_add_f64 v[44:45], v[2:3], v[14:15]
	v_add_f64 v[42:43], v[2:3], -v[14:15]
	v_fma_f64 v[32:33], v[96:97], v[32:33], v[0:1]
	v_fma_f64 v[34:35], v[96:97], v[34:35], -v[16:17]
	v_add_f64 v[0:1], v[38:39], v[12:13]
	v_add_f64 v[16:17], v[40:41], v[46:47]
	v_add_f64 v[2:3], v[6:7], v[2:3]
	v_add_f64 v[36:37], v[36:37], -v[12:13]
	v_fma_f64 v[38:39], v[44:45], -0.5, v[6:7]
	s_mov_b32 s2, 0xe8584caa
	s_mov_b32 s3, 0xbfebb67a
	;; [unrolled: 1-line block ×4, first 2 shown]
	v_fma_f64 v[4:5], v[42:43], s[2:3], v[24:25]
	v_fma_f64 v[12:13], v[42:43], s[8:9], v[24:25]
	v_add_f64 v[42:43], v[26:27], v[18:19]
	v_add_f64 v[44:45], v[8:9], v[40:41]
	v_fma_f64 v[48:49], v[16:17], -0.5, v[8:9]
	v_add_f64 v[50:51], v[26:27], -v[18:19]
	v_add_f64 v[2:3], v[2:3], v[14:15]
	v_fma_f64 v[6:7], v[36:37], s[8:9], v[38:39]
	v_fma_f64 v[14:15], v[36:37], s[2:3], v[38:39]
	v_add_f64 v[36:37], v[28:29], v[32:33]
	v_add_f64 v[38:39], v[30:31], v[34:35]
	;; [unrolled: 1-line block ×3, first 2 shown]
	v_fma_f64 v[42:43], v[42:43], -0.5, v[10:11]
	v_add_f64 v[40:41], v[40:41], -v[46:47]
	v_add_f64 v[8:9], v[44:45], v[46:47]
	v_add_f64 v[44:45], v[20:21], v[28:29]
	v_add_f64 v[46:47], v[30:31], -v[34:35]
	v_add_f64 v[30:31], v[22:23], v[30:31]
	v_fma_f64 v[16:17], v[50:51], s[2:3], v[48:49]
	v_fma_f64 v[24:25], v[50:51], s[8:9], v[48:49]
	v_fma_f64 v[36:37], v[36:37], -0.5, v[20:21]
	v_fma_f64 v[38:39], v[38:39], -0.5, v[22:23]
	v_add_f64 v[48:49], v[28:29], -v[32:33]
	v_add_f64 v[10:11], v[26:27], v[18:19]
	v_fma_f64 v[18:19], v[40:41], s[8:9], v[42:43]
	v_fma_f64 v[26:27], v[40:41], s[2:3], v[42:43]
	v_add_f64 v[20:21], v[44:45], v[32:33]
	v_add_f64 v[22:23], v[30:31], v[34:35]
	v_fma_f64 v[28:29], v[46:47], s[2:3], v[36:37]
	v_fma_f64 v[32:33], v[46:47], s[8:9], v[36:37]
	;; [unrolled: 1-line block ×4, first 2 shown]
	ds_write_b128 v180, v[0:3]
	ds_write_b128 v180, v[4:7] offset:4896
	ds_write_b128 v180, v[12:15] offset:9792
	ds_write_b128 v180, v[8:11] offset:1632
	ds_write_b128 v180, v[16:19] offset:6528
	ds_write_b128 v180, v[24:27] offset:11424
	ds_write_b128 v180, v[20:23] offset:3264
	ds_write_b128 v180, v[28:31] offset:8160
	ds_write_b128 v180, v[32:35] offset:13056
	s_waitcnt lgkmcnt(0)
	s_barrier
	s_and_b64 exec, exec, s[0:1]
	s_cbranch_execz .LBB0_23
; %bb.22:
	global_load_dwordx4 v[0:3], v180, s[12:13]
	buffer_load_dword v22, off, s[64:67], 0 offset:36 ; 4-byte Folded Reload
	buffer_load_dword v23, off, s[64:67], 0 offset:40 ; 4-byte Folded Reload
	ds_read_b128 v[4:7], v180
	v_mad_u64_u32 v[14:15], s[0:1], s4, v185, 0
	ds_read_b128 v[8:11], v180 offset:864
	ds_read_b128 v[16:19], v180 offset:13824
	s_mul_i32 s3, s5, 0x360
	s_mul_i32 s2, s4, 0x360
	s_waitcnt vmcnt(2) lgkmcnt(2)
	v_mul_f64 v[20:21], v[6:7], v[2:3]
	v_mul_f64 v[2:3], v[4:5], v[2:3]
	s_waitcnt vmcnt(1)
	v_mad_u64_u32 v[12:13], s[0:1], s6, v22, 0
	s_waitcnt vmcnt(0)
	v_mad_u64_u32 v[22:23], s[0:1], s7, v22, v[13:14]
	v_fma_f64 v[4:5], v[4:5], v[0:1], v[20:21]
	v_fma_f64 v[2:3], v[0:1], v[6:7], -v[2:3]
	s_waitcnt lgkmcnt(0)
	v_mad_u64_u32 v[23:24], s[0:1], s5, v185, v[15:16]
	s_mov_b32 s0, 0x672e4abd
	s_mov_b32 s1, 0x3f51d8f5
	v_mov_b32_e32 v13, v22
	v_lshlrev_b64 v[6:7], 4, v[12:13]
	v_mul_f64 v[0:1], v[4:5], s[0:1]
	v_mul_f64 v[2:3], v[2:3], s[0:1]
	v_mov_b32_e32 v15, v23
	v_mov_b32_e32 v20, s15
	v_lshlrev_b64 v[12:13], 4, v[14:15]
	v_add_co_u32_e32 v4, vcc, s14, v6
	v_addc_co_u32_e32 v5, vcc, v20, v7, vcc
	v_add_co_u32_e32 v4, vcc, v4, v12
	v_addc_co_u32_e32 v5, vcc, v5, v13, vcc
	global_store_dwordx4 v[4:5], v[0:3], off
	global_load_dwordx4 v[0:3], v180, s[12:13] offset:864
	s_mul_hi_u32 s5, s4, 0x360
	s_add_i32 s3, s5, s3
	v_add_co_u32_e32 v12, vcc, s2, v4
	v_mov_b32_e32 v20, s13
	s_movk_i32 s4, 0x1000
	s_waitcnt vmcnt(0)
	v_mul_f64 v[6:7], v[10:11], v[2:3]
	v_mul_f64 v[2:3], v[8:9], v[2:3]
	v_fma_f64 v[6:7], v[8:9], v[0:1], v[6:7]
	v_fma_f64 v[2:3], v[0:1], v[10:11], -v[2:3]
	v_mul_f64 v[0:1], v[6:7], s[0:1]
	v_mul_f64 v[2:3], v[2:3], s[0:1]
	v_mov_b32_e32 v6, s3
	v_addc_co_u32_e32 v13, vcc, v5, v6, vcc
	global_store_dwordx4 v[12:13], v[0:3], off
	global_load_dwordx4 v[0:3], v180, s[12:13] offset:1728
	ds_read_b128 v[4:7], v180 offset:1728
	ds_read_b128 v[8:11], v180 offset:2592
	s_waitcnt vmcnt(0) lgkmcnt(1)
	v_mul_f64 v[14:15], v[6:7], v[2:3]
	v_mul_f64 v[2:3], v[4:5], v[2:3]
	v_fma_f64 v[4:5], v[4:5], v[0:1], v[14:15]
	v_fma_f64 v[2:3], v[0:1], v[6:7], -v[2:3]
	v_mul_f64 v[0:1], v[4:5], s[0:1]
	v_mul_f64 v[2:3], v[2:3], s[0:1]
	v_mov_b32_e32 v5, s3
	v_add_co_u32_e32 v4, vcc, s2, v12
	v_addc_co_u32_e32 v5, vcc, v13, v5, vcc
	v_add_co_u32_e32 v12, vcc, s2, v4
	global_store_dwordx4 v[4:5], v[0:3], off
	global_load_dwordx4 v[0:3], v180, s[12:13] offset:2592
	s_waitcnt vmcnt(0) lgkmcnt(0)
	v_mul_f64 v[6:7], v[10:11], v[2:3]
	v_mul_f64 v[2:3], v[8:9], v[2:3]
	v_fma_f64 v[6:7], v[8:9], v[0:1], v[6:7]
	v_fma_f64 v[2:3], v[0:1], v[10:11], -v[2:3]
	v_mul_f64 v[0:1], v[6:7], s[0:1]
	v_mul_f64 v[2:3], v[2:3], s[0:1]
	v_mov_b32_e32 v6, s3
	v_addc_co_u32_e32 v13, vcc, v5, v6, vcc
	v_add_co_u32_e32 v22, vcc, s12, v180
	v_addc_co_u32_e32 v23, vcc, 0, v20, vcc
	global_store_dwordx4 v[12:13], v[0:3], off
	global_load_dwordx4 v[0:3], v180, s[12:13] offset:3456
	ds_read_b128 v[4:7], v180 offset:3456
	ds_read_b128 v[8:11], v180 offset:4320
	s_waitcnt vmcnt(0) lgkmcnt(1)
	v_mul_f64 v[14:15], v[6:7], v[2:3]
	v_mul_f64 v[2:3], v[4:5], v[2:3]
	v_fma_f64 v[4:5], v[4:5], v[0:1], v[14:15]
	v_fma_f64 v[2:3], v[0:1], v[6:7], -v[2:3]
	v_add_co_u32_e32 v14, vcc, s4, v22
	v_addc_co_u32_e32 v15, vcc, 0, v23, vcc
	v_mov_b32_e32 v6, s3
	s_movk_i32 s4, 0x2000
	v_mul_f64 v[0:1], v[4:5], s[0:1]
	v_mul_f64 v[2:3], v[2:3], s[0:1]
	v_add_co_u32_e32 v4, vcc, s2, v12
	v_addc_co_u32_e32 v5, vcc, v13, v6, vcc
	v_add_co_u32_e32 v12, vcc, s2, v4
	global_store_dwordx4 v[4:5], v[0:3], off
	global_load_dwordx4 v[0:3], v[14:15], off offset:224
	s_waitcnt vmcnt(0) lgkmcnt(0)
	v_mul_f64 v[6:7], v[10:11], v[2:3]
	v_mul_f64 v[2:3], v[8:9], v[2:3]
	v_fma_f64 v[6:7], v[8:9], v[0:1], v[6:7]
	v_fma_f64 v[2:3], v[0:1], v[10:11], -v[2:3]
	v_mul_f64 v[0:1], v[6:7], s[0:1]
	v_mul_f64 v[2:3], v[2:3], s[0:1]
	v_mov_b32_e32 v6, s3
	v_addc_co_u32_e32 v13, vcc, v5, v6, vcc
	global_store_dwordx4 v[12:13], v[0:3], off
	global_load_dwordx4 v[0:3], v[14:15], off offset:1088
	ds_read_b128 v[4:7], v180 offset:5184
	ds_read_b128 v[8:11], v180 offset:6048
	s_waitcnt vmcnt(0) lgkmcnt(1)
	v_mul_f64 v[20:21], v[6:7], v[2:3]
	v_mul_f64 v[2:3], v[4:5], v[2:3]
	v_fma_f64 v[4:5], v[4:5], v[0:1], v[20:21]
	v_fma_f64 v[2:3], v[0:1], v[6:7], -v[2:3]
	v_mul_f64 v[0:1], v[4:5], s[0:1]
	v_mul_f64 v[2:3], v[2:3], s[0:1]
	v_mov_b32_e32 v5, s3
	v_add_co_u32_e32 v4, vcc, s2, v12
	v_addc_co_u32_e32 v5, vcc, v13, v5, vcc
	v_add_co_u32_e32 v12, vcc, s2, v4
	global_store_dwordx4 v[4:5], v[0:3], off
	global_load_dwordx4 v[0:3], v[14:15], off offset:1952
	s_waitcnt vmcnt(0) lgkmcnt(0)
	v_mul_f64 v[6:7], v[10:11], v[2:3]
	v_mul_f64 v[2:3], v[8:9], v[2:3]
	v_fma_f64 v[6:7], v[8:9], v[0:1], v[6:7]
	v_fma_f64 v[2:3], v[0:1], v[10:11], -v[2:3]
	v_mul_f64 v[0:1], v[6:7], s[0:1]
	v_mul_f64 v[2:3], v[2:3], s[0:1]
	v_mov_b32_e32 v6, s3
	v_addc_co_u32_e32 v13, vcc, v5, v6, vcc
	global_store_dwordx4 v[12:13], v[0:3], off
	global_load_dwordx4 v[0:3], v[14:15], off offset:2816
	ds_read_b128 v[4:7], v180 offset:6912
	ds_read_b128 v[8:11], v180 offset:7776
	s_waitcnt vmcnt(0) lgkmcnt(1)
	v_mul_f64 v[20:21], v[6:7], v[2:3]
	v_mul_f64 v[2:3], v[4:5], v[2:3]
	v_fma_f64 v[4:5], v[4:5], v[0:1], v[20:21]
	v_fma_f64 v[2:3], v[0:1], v[6:7], -v[2:3]
	v_mul_f64 v[0:1], v[4:5], s[0:1]
	v_mul_f64 v[2:3], v[2:3], s[0:1]
	v_mov_b32_e32 v5, s3
	v_add_co_u32_e32 v4, vcc, s2, v12
	v_addc_co_u32_e32 v5, vcc, v13, v5, vcc
	v_add_co_u32_e32 v12, vcc, s4, v22
	global_store_dwordx4 v[4:5], v[0:3], off
	global_load_dwordx4 v[0:3], v[14:15], off offset:3680
	v_addc_co_u32_e32 v13, vcc, 0, v23, vcc
	v_add_co_u32_e32 v14, vcc, s2, v4
	s_movk_i32 s4, 0x3000
	s_waitcnt vmcnt(0) lgkmcnt(0)
	v_mul_f64 v[6:7], v[10:11], v[2:3]
	v_mul_f64 v[2:3], v[8:9], v[2:3]
	v_fma_f64 v[6:7], v[8:9], v[0:1], v[6:7]
	v_fma_f64 v[2:3], v[0:1], v[10:11], -v[2:3]
	v_mov_b32_e32 v8, s3
	v_addc_co_u32_e32 v15, vcc, v5, v8, vcc
	v_mul_f64 v[0:1], v[6:7], s[0:1]
	v_mul_f64 v[2:3], v[2:3], s[0:1]
	global_store_dwordx4 v[14:15], v[0:3], off
	global_load_dwordx4 v[0:3], v[12:13], off offset:448
	ds_read_b128 v[4:7], v180 offset:8640
	ds_read_b128 v[8:11], v180 offset:9504
	s_waitcnt vmcnt(0) lgkmcnt(1)
	v_mul_f64 v[20:21], v[6:7], v[2:3]
	v_mul_f64 v[2:3], v[4:5], v[2:3]
	v_fma_f64 v[4:5], v[4:5], v[0:1], v[20:21]
	v_fma_f64 v[2:3], v[0:1], v[6:7], -v[2:3]
	v_mul_f64 v[0:1], v[4:5], s[0:1]
	v_mul_f64 v[2:3], v[2:3], s[0:1]
	v_mov_b32_e32 v5, s3
	v_add_co_u32_e32 v4, vcc, s2, v14
	v_addc_co_u32_e32 v5, vcc, v15, v5, vcc
	v_add_co_u32_e32 v14, vcc, s2, v4
	global_store_dwordx4 v[4:5], v[0:3], off
	global_load_dwordx4 v[0:3], v[12:13], off offset:1312
	s_waitcnt vmcnt(0) lgkmcnt(0)
	v_mul_f64 v[6:7], v[10:11], v[2:3]
	v_mul_f64 v[2:3], v[8:9], v[2:3]
	v_fma_f64 v[6:7], v[8:9], v[0:1], v[6:7]
	v_fma_f64 v[2:3], v[0:1], v[10:11], -v[2:3]
	v_mul_f64 v[0:1], v[6:7], s[0:1]
	v_mul_f64 v[2:3], v[2:3], s[0:1]
	v_mov_b32_e32 v6, s3
	v_addc_co_u32_e32 v15, vcc, v5, v6, vcc
	global_store_dwordx4 v[14:15], v[0:3], off
	global_load_dwordx4 v[0:3], v[12:13], off offset:2176
	ds_read_b128 v[4:7], v180 offset:10368
	ds_read_b128 v[8:11], v180 offset:11232
	s_waitcnt vmcnt(0) lgkmcnt(1)
	v_mul_f64 v[20:21], v[6:7], v[2:3]
	v_mul_f64 v[2:3], v[4:5], v[2:3]
	v_fma_f64 v[4:5], v[4:5], v[0:1], v[20:21]
	v_fma_f64 v[2:3], v[0:1], v[6:7], -v[2:3]
	v_mul_f64 v[0:1], v[4:5], s[0:1]
	v_mul_f64 v[2:3], v[2:3], s[0:1]
	v_mov_b32_e32 v5, s3
	v_add_co_u32_e32 v4, vcc, s2, v14
	v_addc_co_u32_e32 v5, vcc, v15, v5, vcc
	v_add_co_u32_e32 v14, vcc, s2, v4
	global_store_dwordx4 v[4:5], v[0:3], off
	global_load_dwordx4 v[0:3], v[12:13], off offset:3040
	s_waitcnt vmcnt(0) lgkmcnt(0)
	v_mul_f64 v[6:7], v[10:11], v[2:3]
	v_mul_f64 v[2:3], v[8:9], v[2:3]
	v_fma_f64 v[6:7], v[8:9], v[0:1], v[6:7]
	v_fma_f64 v[2:3], v[0:1], v[10:11], -v[2:3]
	v_mul_f64 v[0:1], v[6:7], s[0:1]
	v_mul_f64 v[2:3], v[2:3], s[0:1]
	v_mov_b32_e32 v6, s3
	v_addc_co_u32_e32 v15, vcc, v5, v6, vcc
	global_store_dwordx4 v[14:15], v[0:3], off
	global_load_dwordx4 v[0:3], v[12:13], off offset:3904
	ds_read_b128 v[4:7], v180 offset:12096
	ds_read_b128 v[8:11], v180 offset:12960
	s_waitcnt vmcnt(0) lgkmcnt(1)
	v_mul_f64 v[12:13], v[6:7], v[2:3]
	v_mul_f64 v[2:3], v[4:5], v[2:3]
	v_fma_f64 v[4:5], v[4:5], v[0:1], v[12:13]
	v_fma_f64 v[2:3], v[0:1], v[6:7], -v[2:3]
	v_mov_b32_e32 v7, s3
	v_mul_f64 v[0:1], v[4:5], s[0:1]
	v_mul_f64 v[2:3], v[2:3], s[0:1]
	v_add_co_u32_e32 v4, vcc, s4, v22
	v_addc_co_u32_e32 v5, vcc, 0, v23, vcc
	v_add_co_u32_e32 v6, vcc, s2, v14
	v_addc_co_u32_e32 v7, vcc, v15, v7, vcc
	global_store_dwordx4 v[6:7], v[0:3], off
	global_load_dwordx4 v[0:3], v[4:5], off offset:672
	v_add_co_u32_e32 v6, vcc, s2, v6
	s_waitcnt vmcnt(0) lgkmcnt(0)
	v_mul_f64 v[12:13], v[10:11], v[2:3]
	v_mul_f64 v[2:3], v[8:9], v[2:3]
	v_fma_f64 v[8:9], v[8:9], v[0:1], v[12:13]
	v_fma_f64 v[2:3], v[0:1], v[10:11], -v[2:3]
	v_mul_f64 v[0:1], v[8:9], s[0:1]
	v_mul_f64 v[2:3], v[2:3], s[0:1]
	v_mov_b32_e32 v8, s3
	v_addc_co_u32_e32 v7, vcc, v7, v8, vcc
	global_store_dwordx4 v[6:7], v[0:3], off
	global_load_dwordx4 v[0:3], v[4:5], off offset:1536
	s_waitcnt vmcnt(0)
	v_mul_f64 v[4:5], v[18:19], v[2:3]
	v_mul_f64 v[2:3], v[16:17], v[2:3]
	v_fma_f64 v[4:5], v[16:17], v[0:1], v[4:5]
	v_fma_f64 v[2:3], v[0:1], v[18:19], -v[2:3]
	v_mul_f64 v[0:1], v[4:5], s[0:1]
	v_mul_f64 v[2:3], v[2:3], s[0:1]
	v_mov_b32_e32 v5, s3
	v_add_co_u32_e32 v4, vcc, s2, v6
	v_addc_co_u32_e32 v5, vcc, v7, v5, vcc
	global_store_dwordx4 v[4:5], v[0:3], off
.LBB0_23:
	s_endpgm
	.section	.rodata,"a",@progbits
	.p2align	6, 0x0
	.amdhsa_kernel bluestein_single_back_len918_dim1_dp_op_CI_CI
		.amdhsa_group_segment_fixed_size 14688
		.amdhsa_private_segment_fixed_size 688
		.amdhsa_kernarg_size 104
		.amdhsa_user_sgpr_count 6
		.amdhsa_user_sgpr_private_segment_buffer 1
		.amdhsa_user_sgpr_dispatch_ptr 0
		.amdhsa_user_sgpr_queue_ptr 0
		.amdhsa_user_sgpr_kernarg_segment_ptr 1
		.amdhsa_user_sgpr_dispatch_id 0
		.amdhsa_user_sgpr_flat_scratch_init 0
		.amdhsa_user_sgpr_private_segment_size 0
		.amdhsa_uses_dynamic_stack 0
		.amdhsa_system_sgpr_private_segment_wavefront_offset 1
		.amdhsa_system_sgpr_workgroup_id_x 1
		.amdhsa_system_sgpr_workgroup_id_y 0
		.amdhsa_system_sgpr_workgroup_id_z 0
		.amdhsa_system_sgpr_workgroup_info 0
		.amdhsa_system_vgpr_workitem_id 0
		.amdhsa_next_free_vgpr 256
		.amdhsa_next_free_sgpr 68
		.amdhsa_reserve_vcc 1
		.amdhsa_reserve_flat_scratch 0
		.amdhsa_float_round_mode_32 0
		.amdhsa_float_round_mode_16_64 0
		.amdhsa_float_denorm_mode_32 3
		.amdhsa_float_denorm_mode_16_64 3
		.amdhsa_dx10_clamp 1
		.amdhsa_ieee_mode 1
		.amdhsa_fp16_overflow 0
		.amdhsa_exception_fp_ieee_invalid_op 0
		.amdhsa_exception_fp_denorm_src 0
		.amdhsa_exception_fp_ieee_div_zero 0
		.amdhsa_exception_fp_ieee_overflow 0
		.amdhsa_exception_fp_ieee_underflow 0
		.amdhsa_exception_fp_ieee_inexact 0
		.amdhsa_exception_int_div_zero 0
	.end_amdhsa_kernel
	.text
.Lfunc_end0:
	.size	bluestein_single_back_len918_dim1_dp_op_CI_CI, .Lfunc_end0-bluestein_single_back_len918_dim1_dp_op_CI_CI
                                        ; -- End function
	.section	.AMDGPU.csdata,"",@progbits
; Kernel info:
; codeLenInByte = 28324
; NumSgprs: 72
; NumVgprs: 256
; ScratchSize: 688
; MemoryBound: 0
; FloatMode: 240
; IeeeMode: 1
; LDSByteSize: 14688 bytes/workgroup (compile time only)
; SGPRBlocks: 8
; VGPRBlocks: 63
; NumSGPRsForWavesPerEU: 72
; NumVGPRsForWavesPerEU: 256
; Occupancy: 1
; WaveLimiterHint : 1
; COMPUTE_PGM_RSRC2:SCRATCH_EN: 1
; COMPUTE_PGM_RSRC2:USER_SGPR: 6
; COMPUTE_PGM_RSRC2:TRAP_HANDLER: 0
; COMPUTE_PGM_RSRC2:TGID_X_EN: 1
; COMPUTE_PGM_RSRC2:TGID_Y_EN: 0
; COMPUTE_PGM_RSRC2:TGID_Z_EN: 0
; COMPUTE_PGM_RSRC2:TIDIG_COMP_CNT: 0
	.type	__hip_cuid_8b506824ca5f4142,@object ; @__hip_cuid_8b506824ca5f4142
	.section	.bss,"aw",@nobits
	.globl	__hip_cuid_8b506824ca5f4142
__hip_cuid_8b506824ca5f4142:
	.byte	0                               ; 0x0
	.size	__hip_cuid_8b506824ca5f4142, 1

	.ident	"AMD clang version 19.0.0git (https://github.com/RadeonOpenCompute/llvm-project roc-6.4.0 25133 c7fe45cf4b819c5991fe208aaa96edf142730f1d)"
	.section	".note.GNU-stack","",@progbits
	.addrsig
	.addrsig_sym __hip_cuid_8b506824ca5f4142
	.amdgpu_metadata
---
amdhsa.kernels:
  - .args:
      - .actual_access:  read_only
        .address_space:  global
        .offset:         0
        .size:           8
        .value_kind:     global_buffer
      - .actual_access:  read_only
        .address_space:  global
        .offset:         8
        .size:           8
        .value_kind:     global_buffer
      - .actual_access:  read_only
        .address_space:  global
        .offset:         16
        .size:           8
        .value_kind:     global_buffer
      - .actual_access:  read_only
        .address_space:  global
        .offset:         24
        .size:           8
        .value_kind:     global_buffer
      - .actual_access:  read_only
        .address_space:  global
        .offset:         32
        .size:           8
        .value_kind:     global_buffer
      - .offset:         40
        .size:           8
        .value_kind:     by_value
      - .address_space:  global
        .offset:         48
        .size:           8
        .value_kind:     global_buffer
      - .address_space:  global
        .offset:         56
        .size:           8
        .value_kind:     global_buffer
      - .address_space:  global
        .offset:         64
        .size:           8
        .value_kind:     global_buffer
      - .address_space:  global
        .offset:         72
        .size:           8
        .value_kind:     global_buffer
      - .offset:         80
        .size:           4
        .value_kind:     by_value
      - .address_space:  global
        .offset:         88
        .size:           8
        .value_kind:     global_buffer
      - .address_space:  global
        .offset:         96
        .size:           8
        .value_kind:     global_buffer
    .group_segment_fixed_size: 14688
    .kernarg_segment_align: 8
    .kernarg_segment_size: 104
    .language:       OpenCL C
    .language_version:
      - 2
      - 0
    .max_flat_workgroup_size: 102
    .name:           bluestein_single_back_len918_dim1_dp_op_CI_CI
    .private_segment_fixed_size: 688
    .sgpr_count:     72
    .sgpr_spill_count: 0
    .symbol:         bluestein_single_back_len918_dim1_dp_op_CI_CI.kd
    .uniform_work_group_size: 1
    .uses_dynamic_stack: false
    .vgpr_count:     256
    .vgpr_spill_count: 205
    .wavefront_size: 64
amdhsa.target:   amdgcn-amd-amdhsa--gfx906
amdhsa.version:
  - 1
  - 2
...

	.end_amdgpu_metadata
